;; amdgpu-corpus repo=ROCm/rocFFT kind=compiled arch=gfx906 opt=O3
	.text
	.amdgcn_target "amdgcn-amd-amdhsa--gfx906"
	.amdhsa_code_object_version 6
	.protected	bluestein_single_back_len1260_dim1_dp_op_CI_CI ; -- Begin function bluestein_single_back_len1260_dim1_dp_op_CI_CI
	.globl	bluestein_single_back_len1260_dim1_dp_op_CI_CI
	.p2align	8
	.type	bluestein_single_back_len1260_dim1_dp_op_CI_CI,@function
bluestein_single_back_len1260_dim1_dp_op_CI_CI: ; @bluestein_single_back_len1260_dim1_dp_op_CI_CI
; %bb.0:
	s_load_dwordx4 s[16:19], s[4:5], 0x28
	s_mov_b64 s[38:39], s[2:3]
	v_mul_u32_u24_e32 v1, 0x411, v0
	s_mov_b64 s[36:37], s[0:1]
	v_add_u32_sdwa v4, s6, v1 dst_sel:DWORD dst_unused:UNUSED_PAD src0_sel:DWORD src1_sel:WORD_1
	v_mov_b32_e32 v5, 0
	s_add_u32 s36, s36, s7
	s_waitcnt lgkmcnt(0)
	v_cmp_gt_u64_e32 vcc, s[16:17], v[4:5]
	s_addc_u32 s37, s37, 0
	s_and_saveexec_b64 s[0:1], vcc
	s_cbranch_execz .LBB0_26
; %bb.1:
	s_load_dwordx4 s[0:3], s[4:5], 0x18
	s_load_dwordx4 s[12:15], s[4:5], 0x0
	v_mov_b32_e32 v2, 63
	v_mul_lo_u16_sdwa v1, v1, v2 dst_sel:DWORD dst_unused:UNUSED_PAD src0_sel:WORD_1 src1_sel:DWORD
	v_sub_u16_e32 v187, v0, v1
	s_waitcnt lgkmcnt(0)
	s_load_dwordx4 s[8:11], s[0:1], 0x0
	v_mov_b32_e32 v5, v4
	buffer_store_dword v5, off, s[36:39], 0 ; 4-byte Folded Spill
	s_nop 0
	buffer_store_dword v6, off, s[36:39], 0 offset:4 ; 4-byte Folded Spill
	v_lshlrev_b32_e32 v156, 4, v187
	s_movk_i32 s6, 0x2000
	s_waitcnt lgkmcnt(0)
	v_mad_u64_u32 v[0:1], s[0:1], s10, v4, 0
	v_mad_u64_u32 v[2:3], s[0:1], s8, v187, 0
	s_mul_hi_u32 s7, s8, 0xffffdc90
	s_sub_i32 s7, s7, s8
	v_mad_u64_u32 v[4:5], s[0:1], s11, v4, v[1:2]
	v_lshlrev_b32_e32 v185, 5, v187
	s_load_dwordx2 s[4:5], s[4:5], 0x38
	v_mad_u64_u32 v[5:6], s[0:1], s9, v187, v[3:4]
	v_mov_b32_e32 v1, v4
	v_lshlrev_b64 v[0:1], 4, v[0:1]
	v_mov_b32_e32 v6, s19
	v_mov_b32_e32 v3, v5
	v_add_co_u32_e32 v4, vcc, s18, v0
	v_addc_co_u32_e32 v5, vcc, v6, v1, vcc
	v_lshlrev_b64 v[0:1], 4, v[2:3]
	s_mul_i32 s0, s9, 0x2760
	v_add_co_u32_e32 v8, vcc, v4, v0
	v_addc_co_u32_e32 v9, vcc, v5, v1, vcc
	v_mov_b32_e32 v0, s13
	v_add_co_u32_e32 v26, vcc, s12, v156
	s_mul_hi_u32 s1, s8, 0x2760
	v_addc_co_u32_e32 v27, vcc, 0, v0, vcc
	s_add_i32 s0, s1, s0
	s_mul_i32 s1, s8, 0x2760
	v_mov_b32_e32 v0, s0
	v_add_co_u32_e32 v10, vcc, s1, v8
	v_addc_co_u32_e32 v11, vcc, v9, v0, vcc
	v_add_co_u32_e32 v24, vcc, s6, v26
	v_addc_co_u32_e32 v25, vcc, 0, v27, vcc
	global_load_dwordx4 v[0:3], v[8:9], off
	global_load_dwordx4 v[4:7], v[10:11], off
	global_load_dwordx4 v[52:55], v[24:25], off offset:1888
	global_load_dwordx4 v[64:67], v156, s[12:13]
	global_load_dwordx4 v[60:63], v156, s[12:13] offset:1008
	s_mul_i32 s6, s9, 0xffffdc90
	s_add_i32 s6, s7, s6
	s_mul_i32 s7, s8, 0xffffdc90
	v_mov_b32_e32 v9, s6
	v_add_co_u32_e32 v8, vcc, s7, v10
	v_addc_co_u32_e32 v9, vcc, v11, v9, vcc
	v_mov_b32_e32 v11, s0
	v_add_co_u32_e32 v10, vcc, s1, v8
	v_addc_co_u32_e32 v11, vcc, v9, v11, vcc
	global_load_dwordx4 v[16:19], v[8:9], off
	global_load_dwordx4 v[20:23], v[10:11], off
	global_load_dwordx4 v[56:59], v[24:25], off offset:2896
	v_mov_b32_e32 v8, s6
	v_add_co_u32_e32 v12, vcc, s7, v10
	v_addc_co_u32_e32 v13, vcc, v11, v8, vcc
	v_mov_b32_e32 v14, s0
	v_add_co_u32_e32 v28, vcc, s1, v12
	v_addc_co_u32_e32 v29, vcc, v13, v14, vcc
	global_load_dwordx4 v[8:11], v[12:13], off
	global_load_dwordx4 v[90:93], v156, s[12:13] offset:2016
	global_load_dwordx4 v[86:89], v[24:25], off offset:3904
	s_nop 0
	global_load_dwordx4 v[12:15], v[28:29], off
	s_load_dwordx4 s[8:11], s[2:3], 0x0
	global_load_dwordx4 v[94:97], v156, s[12:13] offset:3024
	global_load_dwordx4 v[82:85], v[24:25], off offset:880
	v_mov_b32_e32 v25, s6
	v_add_co_u32_e32 v24, vcc, s7, v28
	v_addc_co_u32_e32 v25, vcc, v29, v25, vcc
	v_mov_b32_e32 v32, s0
	v_add_co_u32_e32 v36, vcc, s1, v24
	global_load_dwordx4 v[28:31], v[24:25], off
	v_addc_co_u32_e32 v37, vcc, v25, v32, vcc
	global_load_dwordx4 v[32:35], v[36:37], off
	s_movk_i32 s2, 0x3000
	v_mov_b32_e32 v70, s0
	s_waitcnt vmcnt(12)
	v_mul_f64 v[24:25], v[2:3], v[66:67]
	v_mul_f64 v[40:41], v[6:7], v[54:55]
	;; [unrolled: 1-line block ×4, first 2 shown]
	v_fma_f64 v[0:1], v[0:1], v[64:65], v[24:25]
	buffer_store_dword v64, off, s[36:39], 0 offset:120 ; 4-byte Folded Spill
	s_nop 0
	buffer_store_dword v65, off, s[36:39], 0 offset:124 ; 4-byte Folded Spill
	buffer_store_dword v66, off, s[36:39], 0 offset:128 ; 4-byte Folded Spill
	;; [unrolled: 1-line block ×3, first 2 shown]
	v_fma_f64 v[4:5], v[4:5], v[52:53], v[40:41]
	buffer_store_dword v52, off, s[36:39], 0 offset:40 ; 4-byte Folded Spill
	s_nop 0
	buffer_store_dword v53, off, s[36:39], 0 offset:44 ; 4-byte Folded Spill
	buffer_store_dword v54, off, s[36:39], 0 offset:48 ; 4-byte Folded Spill
	;; [unrolled: 1-line block ×3, first 2 shown]
	v_add_co_u32_e32 v24, vcc, s2, v26
	s_waitcnt vmcnt(18)
	v_mul_f64 v[44:45], v[18:19], v[62:63]
	s_waitcnt vmcnt(16)
	v_mul_f64 v[48:49], v[22:23], v[58:59]
	v_mul_f64 v[46:47], v[16:17], v[62:63]
	;; [unrolled: 1-line block ×3, first 2 shown]
	v_addc_co_u32_e32 v25, vcc, 0, v27, vcc
	s_movk_i32 s2, 0x1000
	v_mov_b32_e32 v66, s6
	v_fma_f64 v[16:17], v[16:17], v[60:61], v[44:45]
	buffer_store_dword v60, off, s[36:39], 0 offset:104 ; 4-byte Folded Spill
	s_nop 0
	buffer_store_dword v61, off, s[36:39], 0 offset:108 ; 4-byte Folded Spill
	buffer_store_dword v62, off, s[36:39], 0 offset:112 ; 4-byte Folded Spill
	;; [unrolled: 1-line block ×3, first 2 shown]
	v_fma_f64 v[20:21], v[20:21], v[56:57], v[48:49]
	buffer_store_dword v56, off, s[36:39], 0 offset:88 ; 4-byte Folded Spill
	s_nop 0
	buffer_store_dword v57, off, s[36:39], 0 offset:92 ; 4-byte Folded Spill
	buffer_store_dword v58, off, s[36:39], 0 offset:96 ; 4-byte Folded Spill
	;; [unrolled: 1-line block ×3, first 2 shown]
	s_waitcnt vmcnt(22)
	v_mul_f64 v[72:73], v[10:11], v[92:93]
	s_waitcnt vmcnt(20)
	v_mul_f64 v[76:77], v[14:15], v[88:89]
	v_mul_f64 v[74:75], v[8:9], v[92:93]
	;; [unrolled: 1-line block ×3, first 2 shown]
	v_fma_f64 v[8:9], v[8:9], v[90:91], v[72:73]
	v_fma_f64 v[12:13], v[12:13], v[86:87], v[76:77]
	v_fma_f64 v[2:3], v[2:3], v[64:65], -v[38:39]
	v_mov_b32_e32 v38, s6
	v_fma_f64 v[6:7], v[6:7], v[52:53], -v[42:43]
	ds_write_b128 v156, v[0:3]
	ds_write_b128 v156, v[4:7] offset:10080
	v_mov_b32_e32 v0, s6
	v_add_co_u32_e32 v4, vcc, s7, v36
	v_addc_co_u32_e32 v5, vcc, v37, v0, vcc
	v_mov_b32_e32 v6, s0
	v_add_co_u32_e32 v36, vcc, s1, v4
	v_addc_co_u32_e32 v37, vcc, v5, v6, vcc
	v_add_co_u32_e32 v40, vcc, s7, v36
	v_addc_co_u32_e32 v41, vcc, v37, v38, vcc
	v_fma_f64 v[18:19], v[18:19], v[60:61], -v[46:47]
	v_add_co_u32_e32 v60, vcc, s2, v26
	v_addc_co_u32_e32 v61, vcc, 0, v27, vcc
	v_mov_b32_e32 v42, s0
	v_add_co_u32_e32 v44, vcc, s1, v40
	v_addc_co_u32_e32 v45, vcc, v41, v42, vcc
	v_mov_b32_e32 v46, s6
	v_add_co_u32_e32 v48, vcc, s7, v44
	v_addc_co_u32_e32 v49, vcc, v45, v46, vcc
	v_fma_f64 v[22:23], v[22:23], v[56:57], -v[50:51]
	v_mov_b32_e32 v50, s0
	v_add_co_u32_e32 v52, vcc, s1, v48
	v_addc_co_u32_e32 v53, vcc, v49, v50, vcc
	global_load_dwordx4 v[0:3], v[4:5], off
	global_load_dwordx4 v[145:148], v156, s[12:13] offset:4032
	s_nop 0
	global_load_dwordx4 v[4:7], v[36:37], off
	global_load_dwordx4 v[101:104], v[24:25], off offset:816
	global_load_dwordx4 v[137:140], v[24:25], off offset:1824
	v_mov_b32_e32 v56, s0
	global_load_dwordx4 v[36:39], v[40:41], off
	s_movk_i32 s2, 0x4000
	global_load_dwordx4 v[40:43], v[44:45], off
	s_nop 0
	global_load_dwordx4 v[44:47], v[48:49], off
	global_load_dwordx4 v[141:144], v[60:61], off offset:944
	global_load_dwordx4 v[129:132], v[60:61], off offset:1952
	s_nop 0
	global_load_dwordx4 v[48:51], v[52:53], off
	global_load_dwordx4 v[133:136], v[24:25], off offset:2832
	global_load_dwordx4 v[121:124], v[24:25], off offset:3840
	v_mov_b32_e32 v25, s6
	v_add_co_u32_e32 v24, vcc, s7, v52
	v_addc_co_u32_e32 v25, vcc, v53, v25, vcc
	global_load_dwordx4 v[52:55], v[24:25], off
	v_add_co_u32_e32 v24, vcc, s1, v24
	v_addc_co_u32_e32 v25, vcc, v25, v56, vcc
	v_add_co_u32_e32 v80, vcc, s2, v26
	v_addc_co_u32_e32 v81, vcc, 0, v27, vcc
	v_mov_b32_e32 v26, s6
	v_add_co_u32_e32 v62, vcc, s7, v24
	v_addc_co_u32_e32 v63, vcc, v25, v26, vcc
	global_load_dwordx4 v[56:59], v[24:25], off
	global_load_dwordx4 v[117:120], v[80:81], off offset:752
	s_nop 0
	global_load_dwordx4 v[24:27], v[62:63], off
	global_load_dwordx4 v[125:128], v[60:61], off offset:2960
	global_load_dwordx4 v[113:116], v[60:61], off offset:3968
	v_mov_b32_e32 v60, s0
	v_add_co_u32_e32 v64, vcc, s1, v62
	v_addc_co_u32_e32 v65, vcc, v63, v60, vcc
	v_add_co_u32_e32 v68, vcc, s7, v64
	v_addc_co_u32_e32 v69, vcc, v65, v66, vcc
	global_load_dwordx4 v[60:63], v[64:65], off
	global_load_dwordx4 v[105:108], v[80:81], off offset:1760
	s_movk_i32 s0, 0x7e
	global_load_dwordx4 v[64:67], v[68:69], off
	v_add_co_u32_e32 v68, vcc, s1, v68
	v_addc_co_u32_e32 v69, vcc, v69, v70, vcc
	global_load_dwordx4 v[68:71], v[68:69], off
	s_nop 0
	global_load_dwordx4 v[109:112], v[80:81], off offset:2768
	ds_write_b128 v156, v[16:19] offset:1008
	ds_write_b128 v156, v[20:23] offset:11088
	buffer_store_dword v90, off, s[36:39], 0 offset:56 ; 4-byte Folded Spill
	s_nop 0
	buffer_store_dword v91, off, s[36:39], 0 offset:60 ; 4-byte Folded Spill
	buffer_store_dword v92, off, s[36:39], 0 offset:64 ; 4-byte Folded Spill
	;; [unrolled: 1-line block ×4, first 2 shown]
	s_nop 0
	buffer_store_dword v87, off, s[36:39], 0 offset:28 ; 4-byte Folded Spill
	buffer_store_dword v88, off, s[36:39], 0 offset:32 ; 4-byte Folded Spill
	;; [unrolled: 1-line block ×3, first 2 shown]
	s_waitcnt vmcnt(49)
	v_mul_f64 v[16:17], v[30:31], v[96:97]
	v_mul_f64 v[18:19], v[28:29], v[96:97]
	v_add_co_u32_e32 v100, vcc, 63, v187
	v_add_co_u32_e32 v150, vcc, s0, v187
	s_movk_i32 s0, 0xbd
	v_lshlrev_b32_e32 v186, 5, v100
	s_movk_i32 s1, 0x13b
	s_waitcnt vmcnt(28)
	v_mul_f64 v[20:21], v[34:35], v[103:104]
	v_mul_f64 v[22:23], v[32:33], v[103:104]
	v_fma_f64 v[10:11], v[10:11], v[90:91], -v[74:75]
	v_fma_f64 v[14:15], v[14:15], v[86:87], -v[78:79]
	ds_write_b128 v156, v[8:11] offset:2016
	ds_write_b128 v156, v[12:15] offset:12096
	v_fma_f64 v[8:9], v[28:29], v[94:95], v[16:17]
	buffer_store_dword v94, off, s[36:39], 0 offset:72 ; 4-byte Folded Spill
	s_nop 0
	buffer_store_dword v95, off, s[36:39], 0 offset:76 ; 4-byte Folded Spill
	buffer_store_dword v96, off, s[36:39], 0 offset:80 ; 4-byte Folded Spill
	buffer_store_dword v97, off, s[36:39], 0 offset:84 ; 4-byte Folded Spill
	v_fma_f64 v[12:13], v[32:33], v[101:102], v[20:21]
	buffer_store_dword v101, off, s[36:39], 0 offset:312 ; 4-byte Folded Spill
	s_nop 0
	buffer_store_dword v102, off, s[36:39], 0 offset:316 ; 4-byte Folded Spill
	buffer_store_dword v103, off, s[36:39], 0 offset:320 ; 4-byte Folded Spill
	;; [unrolled: 1-line block ×3, first 2 shown]
	v_mul_f64 v[16:17], v[2:3], v[147:148]
	s_waitcnt vmcnt(35)
	v_mul_f64 v[20:21], v[6:7], v[139:140]
	s_waitcnt vmcnt(16)
	v_mul_f64 v[28:29], v[68:69], v[111:112]
	v_add_co_u32_e32 v103, vcc, s1, v187
	s_movk_i32 s1, 0x17a
	v_and_b32_e32 v87, 1, v187
	v_fma_f64 v[10:11], v[30:31], v[94:95], -v[18:19]
	v_mul_f64 v[18:19], v[0:1], v[147:148]
	v_fma_f64 v[14:15], v[34:35], v[101:102], -v[22:23]
	ds_write_b128 v156, v[8:11] offset:3024
	ds_write_b128 v156, v[12:15] offset:13104
	v_fma_f64 v[0:1], v[0:1], v[145:146], v[16:17]
	buffer_store_dword v145, off, s[36:39], 0 offset:296 ; 4-byte Folded Spill
	s_nop 0
	buffer_store_dword v146, off, s[36:39], 0 offset:300 ; 4-byte Folded Spill
	buffer_store_dword v147, off, s[36:39], 0 offset:304 ; 4-byte Folded Spill
	;; [unrolled: 1-line block ×3, first 2 shown]
	v_mul_f64 v[22:23], v[4:5], v[139:140]
	v_fma_f64 v[4:5], v[4:5], v[137:138], v[20:21]
	buffer_store_dword v137, off, s[36:39], 0 offset:264 ; 4-byte Folded Spill
	s_nop 0
	buffer_store_dword v138, off, s[36:39], 0 offset:268 ; 4-byte Folded Spill
	buffer_store_dword v139, off, s[36:39], 0 offset:272 ; 4-byte Folded Spill
	;; [unrolled: 1-line block ×3, first 2 shown]
	v_mul_f64 v[8:9], v[38:39], v[143:144]
	v_mul_f64 v[12:13], v[42:43], v[135:136]
	;; [unrolled: 1-line block ×6, first 2 shown]
	v_add_co_u32_e32 v102, vcc, s0, v187
	s_movk_i32 s0, 0xfc
	v_add_co_u32_e32 v104, vcc, s0, v187
	v_add_co_u32_e32 v101, vcc, s1, v187
	s_movk_i32 s1, 0x7c
	v_fma_f64 v[2:3], v[2:3], v[145:146], -v[18:19]
	v_mul_f64 v[18:19], v[66:67], v[84:85]
	v_fma_f64 v[6:7], v[6:7], v[137:138], -v[22:23]
	ds_write_b128 v156, v[0:3] offset:4032
	ds_write_b128 v156, v[4:7] offset:14112
	v_fma_f64 v[0:1], v[36:37], v[141:142], v[8:9]
	buffer_store_dword v141, off, s[36:39], 0 offset:280 ; 4-byte Folded Spill
	s_nop 0
	buffer_store_dword v142, off, s[36:39], 0 offset:284 ; 4-byte Folded Spill
	buffer_store_dword v143, off, s[36:39], 0 offset:288 ; 4-byte Folded Spill
	;; [unrolled: 1-line block ×3, first 2 shown]
	v_fma_f64 v[4:5], v[40:41], v[133:134], v[12:13]
	buffer_store_dword v133, off, s[36:39], 0 offset:248 ; 4-byte Folded Spill
	s_nop 0
	buffer_store_dword v134, off, s[36:39], 0 offset:252 ; 4-byte Folded Spill
	buffer_store_dword v135, off, s[36:39], 0 offset:256 ; 4-byte Folded Spill
	;; [unrolled: 1-line block ×3, first 2 shown]
	v_mul_f64 v[8:9], v[46:47], v[131:132]
	v_mul_f64 v[12:13], v[50:51], v[123:124]
	;; [unrolled: 1-line block ×3, first 2 shown]
	v_fma_f64 v[18:19], v[64:65], v[82:83], v[18:19]
	v_fma_f64 v[22:23], v[68:69], v[109:110], v[22:23]
	v_fma_f64 v[2:3], v[38:39], v[141:142], -v[10:11]
	v_mul_f64 v[10:11], v[44:45], v[131:132]
	v_fma_f64 v[6:7], v[42:43], v[133:134], -v[14:15]
	ds_write_b128 v156, v[0:3] offset:5040
	ds_write_b128 v156, v[4:7] offset:15120
	v_fma_f64 v[0:1], v[44:45], v[129:130], v[8:9]
	buffer_store_dword v129, off, s[36:39], 0 offset:232 ; 4-byte Folded Spill
	s_nop 0
	buffer_store_dword v130, off, s[36:39], 0 offset:236 ; 4-byte Folded Spill
	buffer_store_dword v131, off, s[36:39], 0 offset:240 ; 4-byte Folded Spill
	;; [unrolled: 1-line block ×3, first 2 shown]
	v_mul_f64 v[14:15], v[48:49], v[123:124]
	v_fma_f64 v[4:5], v[48:49], v[121:122], v[12:13]
	buffer_store_dword v121, off, s[36:39], 0 offset:200 ; 4-byte Folded Spill
	s_nop 0
	buffer_store_dword v122, off, s[36:39], 0 offset:204 ; 4-byte Folded Spill
	buffer_store_dword v123, off, s[36:39], 0 offset:208 ; 4-byte Folded Spill
	;; [unrolled: 1-line block ×3, first 2 shown]
	v_mul_f64 v[8:9], v[54:55], v[127:128]
	v_mul_f64 v[12:13], v[58:59], v[119:120]
	v_lshlrev_b32_e32 v123, 1, v150
	v_lshlrev_b32_e32 v124, 1, v102
	v_fma_f64 v[2:3], v[46:47], v[129:130], -v[10:11]
	v_mul_f64 v[10:11], v[52:53], v[127:128]
	v_fma_f64 v[6:7], v[50:51], v[121:122], -v[14:15]
	v_mul_f64 v[14:15], v[56:57], v[119:120]
	ds_write_b128 v156, v[0:3] offset:6048
	ds_write_b128 v156, v[4:7] offset:16128
	v_fma_f64 v[2:3], v[52:53], v[125:126], v[8:9]
	buffer_store_dword v125, off, s[36:39], 0 offset:216 ; 4-byte Folded Spill
	s_nop 0
	buffer_store_dword v126, off, s[36:39], 0 offset:220 ; 4-byte Folded Spill
	buffer_store_dword v127, off, s[36:39], 0 offset:224 ; 4-byte Folded Spill
	buffer_store_dword v128, off, s[36:39], 0 offset:228 ; 4-byte Folded Spill
	v_fma_f64 v[6:7], v[56:57], v[117:118], v[12:13]
	buffer_store_dword v117, off, s[36:39], 0 offset:184 ; 4-byte Folded Spill
	s_nop 0
	buffer_store_dword v118, off, s[36:39], 0 offset:188 ; 4-byte Folded Spill
	buffer_store_dword v119, off, s[36:39], 0 offset:192 ; 4-byte Folded Spill
	;; [unrolled: 1-line block ×3, first 2 shown]
	v_mul_f64 v[12:13], v[24:25], v[115:116]
	v_add_u32_e32 v1, 0x1b9, v187
	v_lshlrev_b32_e32 v0, 1, v187
	v_and_b32_e32 v119, 1, v100
	v_and_b32_e32 v120, 1, v103
	;; [unrolled: 1-line block ×3, first 2 shown]
	v_lshlrev_b32_e32 v128, 1, v1
	v_lshlrev_b32_e32 v122, 1, v100
	;; [unrolled: 1-line block ×3, first 2 shown]
	v_fma_f64 v[4:5], v[54:55], v[125:126], -v[10:11]
	v_mul_f64 v[10:11], v[26:27], v[115:116]
	v_fma_f64 v[8:9], v[58:59], v[117:118], -v[14:15]
	v_mul_f64 v[14:15], v[62:63], v[107:108]
	v_and_b32_e32 v118, 1, v102
	v_lshlrev_b32_e32 v125, 1, v104
	v_lshlrev_b32_e32 v126, 1, v103
	v_fma_f64 v[10:11], v[24:25], v[113:114], v[10:11]
	buffer_store_dword v113, off, s[36:39], 0 offset:168 ; 4-byte Folded Spill
	s_nop 0
	buffer_store_dword v114, off, s[36:39], 0 offset:172 ; 4-byte Folded Spill
	buffer_store_dword v115, off, s[36:39], 0 offset:176 ; 4-byte Folded Spill
	;; [unrolled: 1-line block ×3, first 2 shown]
	v_fma_f64 v[14:15], v[60:61], v[105:106], v[14:15]
	buffer_store_dword v105, off, s[36:39], 0 offset:136 ; 4-byte Folded Spill
	s_nop 0
	buffer_store_dword v106, off, s[36:39], 0 offset:140 ; 4-byte Folded Spill
	buffer_store_dword v107, off, s[36:39], 0 offset:144 ; 4-byte Folded Spill
	buffer_store_dword v108, off, s[36:39], 0 offset:148 ; 4-byte Folded Spill
	buffer_store_dword v82, off, s[36:39], 0 offset:8 ; 4-byte Folded Spill
	s_nop 0
	buffer_store_dword v83, off, s[36:39], 0 offset:12 ; 4-byte Folded Spill
	buffer_store_dword v84, off, s[36:39], 0 offset:16 ; 4-byte Folded Spill
	buffer_store_dword v85, off, s[36:39], 0 offset:20 ; 4-byte Folded Spill
	buffer_store_dword v109, off, s[36:39], 0 offset:152 ; 4-byte Folded Spill
	s_nop 0
	buffer_store_dword v110, off, s[36:39], 0 offset:156 ; 4-byte Folded Spill
	buffer_store_dword v111, off, s[36:39], 0 offset:160 ; 4-byte Folded Spill
	buffer_store_dword v112, off, s[36:39], 0 offset:164 ; 4-byte Folded Spill
	ds_write_b128 v156, v[2:5] offset:7056
	ds_write_b128 v156, v[6:9] offset:17136
	v_add_u32_e32 v2, 0x237, v187
	v_and_b32_e32 v117, 1, v2
	v_lshlrev_b32_e32 v129, 1, v2
	v_fma_f64 v[12:13], v[26:27], v[113:114], -v[12:13]
	v_fma_f64 v[16:17], v[62:63], v[105:106], -v[16:17]
	;; [unrolled: 1-line block ×4, first 2 shown]
	ds_write_b128 v156, v[10:13] offset:8064
	ds_write_b128 v156, v[14:17] offset:18144
	;; [unrolled: 1-line block ×4, first 2 shown]
	s_waitcnt lgkmcnt(0)
	; wave barrier
	s_waitcnt lgkmcnt(0)
	ds_read_b128 v[3:6], v156
	ds_read_b128 v[7:10], v156 offset:1008
	ds_read_b128 v[11:14], v156 offset:10080
	;; [unrolled: 1-line block ×15, first 2 shown]
	s_waitcnt lgkmcnt(13)
	v_add_f64 v[11:12], v[3:4], -v[11:12]
	v_add_f64 v[13:14], v[5:6], -v[13:14]
	s_waitcnt lgkmcnt(12)
	v_add_f64 v[15:16], v[7:8], -v[15:16]
	v_add_f64 v[17:18], v[9:10], -v[17:18]
	;; [unrolled: 3-line block ×4, first 2 shown]
	ds_read_b128 v[67:70], v156 offset:8064
	ds_read_b128 v[71:74], v156 offset:9072
	;; [unrolled: 1-line block ×4, first 2 shown]
	s_waitcnt lgkmcnt(9)
	v_add_f64 v[43:44], v[35:36], -v[43:44]
	v_add_f64 v[45:46], v[37:38], -v[45:46]
	s_waitcnt lgkmcnt(8)
	v_add_f64 v[47:48], v[39:40], -v[47:48]
	v_add_f64 v[49:50], v[41:42], -v[49:50]
	;; [unrolled: 3-line block ×5, first 2 shown]
	v_fma_f64 v[3:4], v[3:4], 2.0, -v[11:12]
	v_fma_f64 v[5:6], v[5:6], 2.0, -v[13:14]
	;; [unrolled: 1-line block ×6, first 2 shown]
	s_waitcnt lgkmcnt(0)
	v_add_f64 v[79:80], v[71:72], -v[79:80]
	v_add_f64 v[81:82], v[73:74], -v[81:82]
	v_fma_f64 v[23:24], v[23:24], 2.0, -v[31:32]
	v_fma_f64 v[25:26], v[25:26], 2.0, -v[33:34]
	;; [unrolled: 1-line block ×12, first 2 shown]
	s_waitcnt lgkmcnt(0)
	; wave barrier
	ds_write_b128 v185, v[3:6]
	ds_write_b128 v185, v[11:14] offset:16
	v_lshlrev_b32_e32 v3, 5, v150
	v_fma_f64 v[71:72], v[71:72], 2.0, -v[79:80]
	v_fma_f64 v[73:74], v[73:74], 2.0, -v[81:82]
	ds_write_b128 v186, v[7:10]
	ds_write_b128 v186, v[15:18] offset:16
	ds_write_b128 v3, v[19:22]
	buffer_store_dword v3, off, s[36:39], 0 offset:416 ; 4-byte Folded Spill
	ds_write_b128 v3, v[27:30] offset:16
	v_lshlrev_b32_e32 v3, 5, v102
	ds_write_b128 v3, v[23:26]
	buffer_store_dword v3, off, s[36:39], 0 offset:424 ; 4-byte Folded Spill
	ds_write_b128 v3, v[31:34] offset:16
	v_lshlrev_b32_e32 v3, 5, v104
	;; [unrolled: 4-line block ×5, first 2 shown]
	buffer_store_dword v3, off, s[36:39], 0 offset:452 ; 4-byte Folded Spill
	ds_write_b128 v3, v[63:66] offset:16
	v_add_u32_e32 v6, 0x3f0, v0
	v_lshlrev_b32_e32 v3, 4, v0
	ds_write_b128 v185, v[55:58] offset:14112
	v_lshlrev_b32_e32 v4, 4, v6
	ds_write_b128 v3, v[67:70] offset:16128
	v_lshlrev_b32_e32 v3, 5, v2
	buffer_store_dword v4, off, s[36:39], 0 offset:460 ; 4-byte Folded Spill
	ds_write_b128 v4, v[75:78] offset:16
	buffer_store_dword v3, off, s[36:39], 0 offset:516 ; 4-byte Folded Spill
	ds_write_b128 v3, v[79:82] offset:16
	v_lshlrev_b32_e32 v3, 4, v87
	v_lshlrev_b32_e32 v4, 4, v118
	ds_write_b128 v185, v[71:74] offset:18144
	s_waitcnt lgkmcnt(0)
	; wave barrier
	s_waitcnt lgkmcnt(0)
	global_load_dwordx4 v[88:91], v3, s[14:15]
	global_load_dwordx4 v[134:137], v4, s[14:15]
	v_lshlrev_b32_e32 v3, 4, v117
	global_load_dwordx4 v[130:133], v3, s[14:15]
	v_lshlrev_b32_e32 v4, 4, v119
	global_load_dwordx2 v[115:116], v4, s[14:15]
	v_lshlrev_b32_e32 v4, 4, v120
	global_load_dwordx4 v[138:141], v4, s[14:15]
	v_lshlrev_b32_e32 v4, 4, v121
	global_load_dwordx4 v[111:114], v4, s[14:15]
	global_load_dwordx2 v[109:110], v3, s[14:15] offset:8
	ds_read_b128 v[1:4], v156
	ds_read_b128 v[7:10], v156 offset:1008
	ds_read_b128 v[11:14], v156 offset:10080
	ds_read_b128 v[15:18], v156 offset:11088
	ds_read_b128 v[19:22], v156 offset:2016
	ds_read_b128 v[23:26], v156 offset:3024
	ds_read_b128 v[27:30], v156 offset:12096
	ds_read_b128 v[31:34], v156 offset:13104
	ds_read_b128 v[35:38], v156 offset:4032
	ds_read_b128 v[39:42], v156 offset:5040
	ds_read_b128 v[43:46], v156 offset:14112
	ds_read_b128 v[47:50], v156 offset:15120
	ds_read_b128 v[51:54], v156 offset:6048
	ds_read_b128 v[55:58], v156 offset:7056
	ds_read_b128 v[59:62], v156 offset:16128
	ds_read_b128 v[63:66], v156 offset:17136
	ds_read_b128 v[67:70], v156 offset:8064
	ds_read_b128 v[71:74], v156 offset:9072
	ds_read_b128 v[75:78], v156 offset:18144
	ds_read_b128 v[79:82], v156 offset:19152
	v_and_or_b32 v0, v0, s1, v87
	v_lshlrev_b32_e32 v0, 4, v0
	s_movk_i32 s1, 0x2fc
	s_waitcnt vmcnt(6) lgkmcnt(14)
	v_mul_f64 v[83:84], v[13:14], v[90:91]
	s_waitcnt vmcnt(5) lgkmcnt(12)
	v_mul_f64 v[105:106], v[33:34], v[136:137]
	v_mul_f64 v[107:108], v[31:32], v[136:137]
	s_waitcnt vmcnt(4)
	v_mul_f64 v[92:93], v[17:18], v[132:133]
	v_mul_f64 v[94:95], v[15:16], v[132:133]
	v_mul_f64 v[85:86], v[11:12], v[90:91]
	v_mul_f64 v[96:97], v[29:30], v[90:91]
	v_mul_f64 v[98:99], v[27:28], v[90:91]
	v_fma_f64 v[11:12], v[11:12], v[88:89], -v[83:84]
	v_fma_f64 v[31:32], v[31:32], v[134:135], -v[105:106]
	s_waitcnt vmcnt(1) lgkmcnt(4)
	v_mul_f64 v[105:106], v[65:66], v[113:114]
	v_fma_f64 v[15:16], v[15:16], v[115:116], -v[92:93]
	buffer_store_dword v115, off, s[36:39], 0 offset:576 ; 4-byte Folded Spill
	s_nop 0
	buffer_store_dword v116, off, s[36:39], 0 offset:580 ; 4-byte Folded Spill
	buffer_store_dword v134, off, s[36:39], 0 offset:464 ; 4-byte Folded Spill
	s_nop 0
	buffer_store_dword v135, off, s[36:39], 0 offset:468 ; 4-byte Folded Spill
	buffer_store_dword v136, off, s[36:39], 0 offset:472 ; 4-byte Folded Spill
	;; [unrolled: 1-line block ×3, first 2 shown]
	v_mul_f64 v[92:93], v[49:50], v[140:141]
	v_fma_f64 v[13:14], v[13:14], v[88:89], v[85:86]
	v_mul_f64 v[83:84], v[45:46], v[90:91]
	v_mul_f64 v[85:86], v[43:44], v[90:91]
	v_fma_f64 v[105:106], v[63:64], v[111:112], -v[105:106]
	v_fma_f64 v[27:28], v[27:28], v[88:89], -v[96:97]
	v_fma_f64 v[29:30], v[29:30], v[88:89], v[98:99]
	v_mul_f64 v[96:97], v[61:62], v[90:91]
	v_fma_f64 v[92:93], v[47:48], v[138:139], -v[92:93]
	v_mul_f64 v[98:99], v[59:60], v[90:91]
	v_fma_f64 v[83:84], v[43:44], v[88:89], -v[83:84]
	v_fma_f64 v[85:86], v[45:46], v[88:89], v[85:86]
	s_waitcnt lgkmcnt(1)
	v_mul_f64 v[43:44], v[77:78], v[90:91]
	v_mul_f64 v[45:46], v[75:76], v[90:91]
	v_add_f64 v[11:12], v[1:2], -v[11:12]
	v_add_f64 v[13:14], v[3:4], -v[13:14]
	;; [unrolled: 1-line block ×3, first 2 shown]
	v_fma_f64 v[96:97], v[59:60], v[88:89], -v[96:97]
	v_fma_f64 v[98:99], v[61:62], v[88:89], v[98:99]
	v_add_f64 v[59:60], v[23:24], -v[31:32]
	v_fma_f64 v[7:8], v[7:8], 2.0, -v[15:16]
	v_fma_f64 v[23:24], v[23:24], 2.0, -v[59:60]
	v_fma_f64 v[33:34], v[33:34], v[134:135], v[107:108]
	v_fma_f64 v[17:18], v[17:18], v[115:116], v[94:95]
	v_mul_f64 v[94:95], v[47:48], v[140:141]
	v_mul_f64 v[107:108], v[63:64], v[113:114]
	buffer_store_dword v138, off, s[36:39], 0 offset:480 ; 4-byte Folded Spill
	s_nop 0
	buffer_store_dword v139, off, s[36:39], 0 offset:484 ; 4-byte Folded Spill
	buffer_store_dword v140, off, s[36:39], 0 offset:488 ; 4-byte Folded Spill
	;; [unrolled: 1-line block ×4, first 2 shown]
	s_nop 0
	buffer_store_dword v112, off, s[36:39], 0 offset:404 ; 4-byte Folded Spill
	buffer_store_dword v113, off, s[36:39], 0 offset:408 ; 4-byte Folded Spill
	;; [unrolled: 1-line block ×3, first 2 shown]
	s_waitcnt vmcnt(14) lgkmcnt(0)
	v_mul_f64 v[47:48], v[81:82], v[109:110]
	buffer_store_dword v109, off, s[36:39], 0 offset:392 ; 4-byte Folded Spill
	s_nop 0
	buffer_store_dword v110, off, s[36:39], 0 offset:396 ; 4-byte Folded Spill
	v_add_f64 v[61:62], v[25:26], -v[33:34]
	v_add_f64 v[17:18], v[9:10], -v[17:18]
	;; [unrolled: 1-line block ×4, first 2 shown]
	v_fma_f64 v[113:114], v[79:80], v[130:131], -v[47:48]
	buffer_store_dword v130, off, s[36:39], 0 offset:328 ; 4-byte Folded Spill
	s_nop 0
	buffer_store_dword v131, off, s[36:39], 0 offset:332 ; 4-byte Folded Spill
	buffer_store_dword v132, off, s[36:39], 0 offset:336 ; 4-byte Folded Spill
	;; [unrolled: 1-line block ×3, first 2 shown]
	v_add_f64 v[47:48], v[19:20], -v[27:28]
	v_fma_f64 v[9:10], v[9:10], 2.0, -v[17:18]
	v_fma_f64 v[25:26], v[25:26], 2.0, -v[61:62]
	;; [unrolled: 1-line block ×3, first 2 shown]
	s_waitcnt lgkmcnt(0)
	; wave barrier
	buffer_store_dword v0, off, s[36:39], 0 offset:420 ; 4-byte Folded Spill
	ds_write_b128 v0, v[11:14] offset:32
	v_fma_f64 v[19:20], v[19:20], 2.0, -v[47:48]
	v_fma_f64 v[55:56], v[55:56], 2.0, -v[83:84]
	v_fma_f64 v[94:95], v[49:50], v[138:139], v[94:95]
	v_fma_f64 v[107:108], v[65:66], v[111:112], v[107:108]
	v_fma_f64 v[111:112], v[77:78], v[88:89], v[45:46]
	v_fma_f64 v[45:46], v[3:4], 2.0, -v[13:14]
	v_add_f64 v[65:66], v[37:38], -v[85:86]
	v_mul_f64 v[49:50], v[79:80], v[109:110]
	v_fma_f64 v[109:110], v[75:76], v[88:89], -v[43:44]
	v_fma_f64 v[43:44], v[1:2], 2.0, -v[11:12]
	v_add_f64 v[75:76], v[39:40], -v[92:93]
	v_add_f64 v[77:78], v[41:42], -v[94:95]
	;; [unrolled: 1-line block ×4, first 2 shown]
	v_fma_f64 v[36:37], v[37:38], 2.0, -v[65:66]
	v_fma_f64 v[115:116], v[81:82], v[130:131], v[49:50]
	v_add_f64 v[49:50], v[21:22], -v[29:30]
	v_add_f64 v[81:82], v[53:54], -v[98:99]
	;; [unrolled: 1-line block ×4, first 2 shown]
	ds_write_b128 v0, v[43:46]
	v_and_or_b32 v0, v122, s0, v119
	v_lshlrev_b32_e32 v0, 4, v0
	s_movk_i32 s0, 0x1fc
	v_fma_f64 v[21:22], v[21:22], 2.0, -v[49:50]
	v_fma_f64 v[38:39], v[39:40], 2.0, -v[75:76]
	;; [unrolled: 1-line block ×3, first 2 shown]
	v_add_f64 v[30:31], v[71:72], -v[113:114]
	v_add_f64 v[32:33], v[73:74], -v[115:116]
	ds_write_b128 v0, v[7:10]
	buffer_store_dword v0, off, s[36:39], 0 offset:428 ; 4-byte Folded Spill
	ds_write_b128 v0, v[15:18] offset:32
	v_and_or_b32 v0, v123, s0, v87
	v_lshlrev_b32_e32 v0, 4, v0
	v_fma_f64 v[51:52], v[51:52], 2.0, -v[79:80]
	v_fma_f64 v[53:54], v[53:54], 2.0, -v[81:82]
	ds_write_b128 v0, v[19:22]
	buffer_store_dword v0, off, s[36:39], 0 offset:436 ; 4-byte Folded Spill
	ds_write_b128 v0, v[47:50] offset:32
	v_and_or_b32 v0, v124, s0, v118
	v_lshlrev_b32_e32 v0, 4, v0
	s_movk_i32 s0, 0x3fc
	v_fma_f64 v[57:58], v[57:58], 2.0, -v[85:86]
	ds_write_b128 v0, v[23:26]
	buffer_store_dword v0, off, s[36:39], 0 offset:444 ; 4-byte Folded Spill
	ds_write_b128 v0, v[59:62] offset:32
	v_and_or_b32 v0, v125, s0, v87
	v_lshlrev_b32_e32 v0, 4, v0
	v_fma_f64 v[67:68], v[67:68], 2.0, -v[92:93]
	v_fma_f64 v[69:70], v[69:70], 2.0, -v[94:95]
	ds_write_b128 v0, v[34:37]
	buffer_store_dword v0, off, s[36:39], 0 offset:456 ; 4-byte Folded Spill
	ds_write_b128 v0, v[63:66] offset:32
	v_and_or_b32 v0, v126, s1, v120
	v_lshlrev_b32_e32 v0, 4, v0
	v_fma_f64 v[2:3], v[71:72], 2.0, -v[30:31]
	v_fma_f64 v[4:5], v[73:74], 2.0, -v[32:33]
	ds_write_b128 v0, v[38:41]
	buffer_store_dword v0, off, s[36:39], 0 offset:496 ; 4-byte Folded Spill
	ds_write_b128 v0, v[75:78] offset:32
	v_and_or_b32 v0, v127, s0, v87
	v_lshlrev_b32_e32 v0, 4, v0
	ds_write_b128 v0, v[51:54]
	buffer_store_dword v0, off, s[36:39], 0 offset:520 ; 4-byte Folded Spill
	ds_write_b128 v0, v[79:82] offset:32
	v_and_or_b32 v0, v128, s0, v121
	v_lshlrev_b32_e32 v0, 4, v0
	s_movk_i32 s0, 0x7fc
	ds_write_b128 v0, v[55:58]
	buffer_store_dword v0, off, s[36:39], 0 offset:540 ; 4-byte Folded Spill
	ds_write_b128 v0, v[83:86] offset:32
	v_and_or_b32 v0, v6, s0, v87
	v_lshlrev_b32_e32 v0, 4, v0
	s_movk_i32 s0, 0x4fc
	ds_write_b128 v0, v[67:70]
	buffer_store_dword v0, off, s[36:39], 0 offset:560 ; 4-byte Folded Spill
	ds_write_b128 v0, v[92:95] offset:32
	v_and_or_b32 v0, v129, s0, v117
	v_lshlrev_b32_e32 v0, 4, v0
	ds_write_b128 v0, v[2:5]
	buffer_store_dword v0, off, s[36:39], 0 offset:564 ; 4-byte Folded Spill
	ds_write_b128 v0, v[30:33] offset:32
	s_waitcnt lgkmcnt(0)
	; wave barrier
	s_waitcnt lgkmcnt(0)
	ds_read_b128 v[26:29], v156
	ds_read_b128 v[22:25], v156 offset:1008
	ds_read_b128 v[96:99], v156 offset:6720
	;; [unrolled: 1-line block ×17, first 2 shown]
	v_cmp_gt_u16_e64 s[0:1], 42, v187
                                        ; implicit-def: $vgpr38_vgpr39
	s_and_saveexec_b64 s[2:3], s[0:1]
	s_cbranch_execz .LBB0_3
; %bb.2:
	ds_read_b128 v[2:5], v156 offset:6048
	ds_read_b128 v[30:33], v156 offset:12768
	;; [unrolled: 1-line block ×3, first 2 shown]
.LBB0_3:
	s_or_b64 exec, exec, s[2:3]
	v_and_b32_e32 v78, 3, v187
	v_lshlrev_b32_e32 v0, 5, v78
	global_load_dwordx4 v[80:83], v0, s[14:15] offset:48
	global_load_dwordx4 v[92:95], v0, s[14:15] offset:32
	v_and_b32_e32 v79, 3, v103
	s_mov_b32 s2, 0xe8584caa
	s_mov_b32 s3, 0x3febb67a
	;; [unrolled: 1-line block ×4, first 2 shown]
	s_waitcnt vmcnt(0) lgkmcnt(14)
	v_mul_f64 v[0:1], v[98:99], v[94:95]
	v_fma_f64 v[105:106], v[96:97], v[92:93], -v[0:1]
	v_mul_f64 v[0:1], v[96:97], v[94:95]
	v_fma_f64 v[96:97], v[98:99], v[92:93], v[0:1]
	s_waitcnt lgkmcnt(13)
	v_mul_f64 v[0:1], v[86:87], v[82:83]
	v_fma_f64 v[98:99], v[84:85], v[80:81], -v[0:1]
	v_mul_f64 v[0:1], v[84:85], v[82:83]
	v_and_b32_e32 v84, 3, v100
	v_fma_f64 v[85:86], v[86:87], v[80:81], v[0:1]
	v_lshlrev_b32_e32 v0, 5, v84
	v_lshlrev_b32_e32 v87, 5, v79
	global_load_dwordx2 v[109:110], v0, s[14:15] offset:32
	global_load_dwordx4 v[135:138], v87, s[14:15] offset:32
	s_waitcnt vmcnt(0)
	v_mul_f64 v[0:1], v[76:77], v[137:138]
	v_fma_f64 v[107:108], v[74:75], v[109:110], -v[0:1]
	buffer_store_dword v109, off, s[36:39], 0 offset:568 ; 4-byte Folded Spill
	s_nop 0
	buffer_store_dword v110, off, s[36:39], 0 offset:572 ; 4-byte Folded Spill
	global_load_dwordx4 v[139:142], v87, s[14:15] offset:40
	global_load_dwordx4 v[131:134], v87, s[14:15] offset:48
	v_mul_f64 v[0:1], v[74:75], v[137:138]
	v_fma_f64 v[74:75], v[76:77], v[109:110], v[0:1]
	s_waitcnt vmcnt(0) lgkmcnt(12)
	v_mul_f64 v[0:1], v[72:73], v[133:134]
	v_fma_f64 v[76:77], v[70:71], v[141:142], -v[0:1]
	v_mul_f64 v[0:1], v[70:71], v[133:134]
	v_and_b32_e32 v70, 3, v150
	v_fma_f64 v[109:110], v[72:73], v[141:142], v[0:1]
	v_lshlrev_b32_e32 v0, 5, v70
	global_load_dwordx2 v[72:73], v0, s[14:15] offset:32
	v_and_b32_e32 v0, 3, v101
	v_lshlrev_b32_e32 v71, 5, v0
	global_load_dwordx4 v[143:146], v71, s[14:15] offset:32
	s_nop 0
	buffer_store_dword v0, off, s[36:39], 0 offset:900 ; 4-byte Folded Spill
	s_waitcnt vmcnt(1) lgkmcnt(9)
	v_mul_f64 v[0:1], v[68:69], v[145:146]
	v_fma_f64 v[111:112], v[66:67], v[72:73], -v[0:1]
	buffer_store_dword v72, off, s[36:39], 0 offset:584 ; 4-byte Folded Spill
	s_nop 0
	buffer_store_dword v73, off, s[36:39], 0 offset:588 ; 4-byte Folded Spill
	v_mul_f64 v[0:1], v[66:67], v[145:146]
	v_fma_f64 v[115:116], v[68:69], v[72:73], v[0:1]
	global_load_dwordx4 v[151:154], v71, s[14:15] offset:40
	global_load_dwordx4 v[66:69], v71, s[14:15] offset:48
	s_waitcnt vmcnt(0) lgkmcnt(7)
	v_mul_f64 v[0:1], v[64:65], v[68:69]
	v_fma_f64 v[117:118], v[62:63], v[153:154], -v[0:1]
	v_mul_f64 v[0:1], v[62:63], v[68:69]
	v_fma_f64 v[119:120], v[64:65], v[153:154], v[0:1]
	v_and_b32_e32 v64, 3, v102
	v_lshlrev_b32_e32 v0, 5, v64
	global_load_dwordx4 v[157:160], v0, s[14:15] offset:48
	global_load_dwordx4 v[125:128], v0, s[14:15] offset:32
	s_waitcnt vmcnt(0)
	v_mul_f64 v[0:1], v[60:61], v[127:128]
	v_fma_f64 v[123:124], v[58:59], v[125:126], -v[0:1]
	v_mul_f64 v[0:1], v[58:59], v[127:128]
	buffer_store_dword v125, off, s[36:39], 0 offset:608 ; 4-byte Folded Spill
	s_nop 0
	buffer_store_dword v126, off, s[36:39], 0 offset:612 ; 4-byte Folded Spill
	buffer_store_dword v127, off, s[36:39], 0 offset:616 ; 4-byte Folded Spill
	buffer_store_dword v128, off, s[36:39], 0 offset:620 ; 4-byte Folded Spill
	v_fma_f64 v[125:126], v[60:61], v[125:126], v[0:1]
	s_waitcnt lgkmcnt(6)
	v_mul_f64 v[0:1], v[52:53], v[159:160]
	v_fma_f64 v[127:128], v[50:51], v[157:158], -v[0:1]
	v_mul_f64 v[0:1], v[50:51], v[159:160]
	buffer_store_dword v157, off, s[36:39], 0 offset:592 ; 4-byte Folded Spill
	s_nop 0
	buffer_store_dword v158, off, s[36:39], 0 offset:596 ; 4-byte Folded Spill
	buffer_store_dword v159, off, s[36:39], 0 offset:600 ; 4-byte Folded Spill
	;; [unrolled: 1-line block ×3, first 2 shown]
	v_fma_f64 v[129:130], v[52:53], v[157:158], v[0:1]
	s_waitcnt lgkmcnt(3)
	v_mul_f64 v[0:1], v[56:57], v[94:95]
	v_fma_f64 v[58:59], v[54:55], v[92:93], -v[0:1]
	v_mul_f64 v[0:1], v[54:55], v[94:95]
	v_fma_f64 v[56:57], v[56:57], v[92:93], v[0:1]
	s_waitcnt lgkmcnt(1)
	v_mul_f64 v[0:1], v[48:49], v[82:83]
	v_fma_f64 v[60:61], v[46:47], v[80:81], -v[0:1]
	v_mul_f64 v[0:1], v[46:47], v[82:83]
	v_fma_f64 v[62:63], v[48:49], v[80:81], v[0:1]
	v_mul_f64 v[0:1], v[44:45], v[139:140]
	buffer_store_dword v139, off, s[36:39], 0 offset:376 ; 4-byte Folded Spill
	s_nop 0
	buffer_store_dword v140, off, s[36:39], 0 offset:380 ; 4-byte Folded Spill
	buffer_store_dword v141, off, s[36:39], 0 offset:384 ; 4-byte Folded Spill
	;; [unrolled: 1-line block ×3, first 2 shown]
	v_fma_f64 v[0:1], v[42:43], v[135:136], -v[0:1]
	buffer_store_dword v135, off, s[36:39], 0 offset:360 ; 4-byte Folded Spill
	s_nop 0
	buffer_store_dword v136, off, s[36:39], 0 offset:364 ; 4-byte Folded Spill
	buffer_store_dword v137, off, s[36:39], 0 offset:368 ; 4-byte Folded Spill
	;; [unrolled: 1-line block ×3, first 2 shown]
	global_load_dwordx2 v[46:47], v87, s[14:15] offset:56
	v_mul_f64 v[42:43], v[42:43], v[139:140]
	v_fma_f64 v[44:45], v[44:45], v[135:136], v[42:43]
	s_waitcnt vmcnt(0) lgkmcnt(0)
	v_mul_f64 v[42:43], v[36:37], v[46:47]
	buffer_store_dword v46, off, s[36:39], 0 offset:624 ; 4-byte Folded Spill
	s_nop 0
	buffer_store_dword v47, off, s[36:39], 0 offset:628 ; 4-byte Folded Spill
	v_fma_f64 v[52:53], v[34:35], v[131:132], -v[42:43]
	buffer_store_dword v131, off, s[36:39], 0 offset:344 ; 4-byte Folded Spill
	s_nop 0
	buffer_store_dword v132, off, s[36:39], 0 offset:348 ; 4-byte Folded Spill
	buffer_store_dword v133, off, s[36:39], 0 offset:352 ; 4-byte Folded Spill
	;; [unrolled: 1-line block ×3, first 2 shown]
	v_mul_f64 v[34:35], v[34:35], v[46:47]
	v_fma_f64 v[54:55], v[36:37], v[131:132], v[34:35]
	v_mul_f64 v[34:35], v[32:33], v[151:152]
	buffer_store_dword v151, off, s[36:39], 0 offset:544 ; 4-byte Folded Spill
	s_nop 0
	buffer_store_dword v152, off, s[36:39], 0 offset:548 ; 4-byte Folded Spill
	buffer_store_dword v153, off, s[36:39], 0 offset:552 ; 4-byte Folded Spill
	;; [unrolled: 1-line block ×3, first 2 shown]
	v_fma_f64 v[42:43], v[30:31], v[143:144], -v[34:35]
	buffer_store_dword v143, off, s[36:39], 0 offset:500 ; 4-byte Folded Spill
	s_nop 0
	buffer_store_dword v144, off, s[36:39], 0 offset:504 ; 4-byte Folded Spill
	buffer_store_dword v145, off, s[36:39], 0 offset:508 ; 4-byte Folded Spill
	;; [unrolled: 1-line block ×3, first 2 shown]
	v_mul_f64 v[30:31], v[30:31], v[151:152]
	v_fma_f64 v[46:47], v[32:33], v[143:144], v[30:31]
	global_load_dwordx2 v[32:33], v71, s[14:15] offset:56
	s_waitcnt vmcnt(0)
	v_mul_f64 v[30:31], v[40:41], v[32:33]
	buffer_store_dword v32, off, s[36:39], 0 offset:632 ; 4-byte Folded Spill
	s_nop 0
	buffer_store_dword v33, off, s[36:39], 0 offset:636 ; 4-byte Folded Spill
	v_fma_f64 v[48:49], v[38:39], v[66:67], -v[30:31]
	buffer_store_dword v66, off, s[36:39], 0 offset:524 ; 4-byte Folded Spill
	s_nop 0
	buffer_store_dword v67, off, s[36:39], 0 offset:528 ; 4-byte Folded Spill
	buffer_store_dword v68, off, s[36:39], 0 offset:532 ; 4-byte Folded Spill
	;; [unrolled: 1-line block ×3, first 2 shown]
	s_waitcnt lgkmcnt(0)
	; wave barrier
	v_mul_f64 v[30:31], v[38:39], v[32:33]
	v_add_f64 v[32:33], v[105:106], v[98:99]
	v_fma_f64 v[50:51], v[40:41], v[66:67], v[30:31]
	v_add_f64 v[30:31], v[26:27], v[105:106]
	v_fma_f64 v[26:27], v[32:33], -0.5, v[26:27]
	v_add_f64 v[32:33], v[96:97], -v[85:86]
	v_add_f64 v[30:31], v[30:31], v[98:99]
	v_fma_f64 v[34:35], v[32:33], s[2:3], v[26:27]
	v_fma_f64 v[38:39], v[32:33], s[6:7], v[26:27]
	v_add_f64 v[26:27], v[28:29], v[96:97]
	v_add_f64 v[32:33], v[26:27], v[85:86]
	v_add_f64 v[26:27], v[96:97], v[85:86]
	v_fma_f64 v[26:27], v[26:27], -0.5, v[28:29]
	v_add_f64 v[28:29], v[105:106], -v[98:99]
	v_fma_f64 v[36:37], v[28:29], s[6:7], v[26:27]
	v_fma_f64 v[40:41], v[28:29], s[2:3], v[26:27]
	v_add_f64 v[26:27], v[22:23], v[107:108]
	v_add_f64 v[65:66], v[26:27], v[76:77]
	v_add_f64 v[26:27], v[107:108], v[76:77]
	v_fma_f64 v[22:23], v[26:27], -0.5, v[22:23]
	v_add_f64 v[26:27], v[74:75], -v[109:110]
	;; [unrolled: 7-line block ×5, first 2 shown]
	v_fma_f64 v[111:112], v[20:21], s[6:7], v[18:19]
	v_fma_f64 v[115:116], v[20:21], s[2:3], v[18:19]
	v_add_f64 v[18:19], v[14:15], v[123:124]
	v_add_f64 v[20:21], v[125:126], -v[129:130]
	v_add_f64 v[117:118], v[18:19], v[127:128]
	v_add_f64 v[18:19], v[123:124], v[127:128]
	v_fma_f64 v[18:19], v[18:19], -0.5, v[14:15]
	v_fma_f64 v[14:15], v[20:21], s[2:3], v[18:19]
	v_fma_f64 v[121:122], v[20:21], s[6:7], v[18:19]
	v_add_f64 v[18:19], v[16:17], v[125:126]
	v_add_f64 v[20:21], v[123:124], -v[127:128]
	v_add_f64 v[119:120], v[18:19], v[129:130]
	v_add_f64 v[18:19], v[125:126], v[129:130]
	v_fma_f64 v[18:19], v[18:19], -0.5, v[16:17]
	;; [unrolled: 7-line block ×4, first 2 shown]
	v_fma_f64 v[12:13], v[20:21], s[6:7], v[18:19]
	v_fma_f64 v[131:132], v[20:21], s[2:3], v[18:19]
	v_add_f64 v[18:19], v[6:7], v[0:1]
	v_add_f64 v[20:21], v[44:45], -v[54:55]
	v_add_f64 v[56:57], v[18:19], v[52:53]
	v_add_f64 v[18:19], v[0:1], v[52:53]
	v_add_f64 v[0:1], v[0:1], -v[52:53]
	v_fma_f64 v[18:19], v[18:19], -0.5, v[6:7]
	v_fma_f64 v[6:7], v[20:21], s[2:3], v[18:19]
	v_fma_f64 v[60:61], v[20:21], s[6:7], v[18:19]
	v_add_f64 v[18:19], v[8:9], v[44:45]
	v_add_f64 v[58:59], v[18:19], v[54:55]
	;; [unrolled: 1-line block ×3, first 2 shown]
	v_fma_f64 v[18:19], v[18:19], -0.5, v[8:9]
	v_fma_f64 v[8:9], v[0:1], s[6:7], v[18:19]
	v_fma_f64 v[62:63], v[0:1], s[2:3], v[18:19]
	v_add_f64 v[18:19], v[42:43], v[48:49]
	v_add_f64 v[0:1], v[2:3], v[42:43]
	v_fma_f64 v[2:3], v[18:19], -0.5, v[2:3]
	v_add_f64 v[18:19], v[46:47], -v[50:51]
	v_add_f64 v[0:1], v[0:1], v[48:49]
	v_fma_f64 v[20:21], v[18:19], s[2:3], v[2:3]
	v_fma_f64 v[24:25], v[18:19], s[6:7], v[2:3]
	v_add_f64 v[18:19], v[46:47], v[50:51]
	v_add_f64 v[2:3], v[4:5], v[46:47]
	v_fma_f64 v[4:5], v[18:19], -0.5, v[4:5]
	v_add_f64 v[18:19], v[42:43], -v[48:49]
	v_add_f64 v[2:3], v[2:3], v[50:51]
	v_fma_f64 v[22:23], v[18:19], s[6:7], v[4:5]
	v_fma_f64 v[26:27], v[18:19], s[2:3], v[4:5]
	v_lshrrev_b32_e32 v4, 2, v187
	v_mul_u32_u24_e32 v4, 12, v4
	v_or_b32_e32 v4, v4, v78
	v_lshlrev_b32_e32 v4, 4, v4
	ds_write_b128 v4, v[30:33]
	ds_write_b128 v4, v[34:37] offset:64
	buffer_store_dword v4, off, s[36:39], 0 offset:640 ; 4-byte Folded Spill
	ds_write_b128 v4, v[38:41] offset:128
	v_lshrrev_b32_e32 v4, 2, v100
	v_mul_u32_u24_e32 v4, 12, v4
	v_or_b32_e32 v4, v4, v84
	v_lshlrev_b32_e32 v4, 4, v4
	ds_write_b128 v4, v[65:68]
	ds_write_b128 v4, v[71:74] offset:64
	buffer_store_dword v4, off, s[36:39], 0 offset:644 ; 4-byte Folded Spill
	ds_write_b128 v4, v[96:99] offset:128
	;; [unrolled: 8-line block ×6, first 2 shown]
	v_lshrrev_b32_e32 v4, 2, v101
	buffer_store_dword v4, off, s[36:39], 0 offset:904 ; 4-byte Folded Spill
	s_and_saveexec_b64 s[2:3], s[0:1]
	s_cbranch_execz .LBB0_5
; %bb.4:
	v_lshrrev_b32_e32 v4, 2, v101
	v_mul_u32_u24_e32 v4, 12, v4
	v_and_b32_e32 v5, 3, v101
	v_or_b32_e32 v4, v4, v5
	v_lshlrev_b32_e32 v4, 4, v4
	ds_write_b128 v4, v[0:3]
	ds_write_b128 v4, v[20:23] offset:64
	ds_write_b128 v4, v[24:27] offset:128
.LBB0_5:
	s_or_b64 exec, exec, s[2:3]
	s_waitcnt lgkmcnt(0)
	; wave barrier
	s_waitcnt lgkmcnt(0)
	ds_read_b128 v[32:35], v156
	ds_read_b128 v[28:31], v156 offset:1008
	ds_read_b128 v[84:87], v156 offset:6720
	;; [unrolled: 1-line block ×17, first 2 shown]
	s_and_saveexec_b64 s[2:3], s[0:1]
	s_cbranch_execz .LBB0_7
; %bb.6:
	ds_read_b128 v[0:3], v156 offset:6048
	ds_read_b128 v[20:23], v156 offset:12768
	ds_read_b128 v[24:27], v156 offset:19488
.LBB0_7:
	s_or_b64 exec, exec, s[2:3]
	s_movk_i32 s2, 0xab
	v_mul_lo_u16_sdwa v96, v187, s2 dst_sel:DWORD dst_unused:UNUSED_PAD src0_sel:BYTE_0 src1_sel:DWORD
	v_lshrrev_b16_e32 v96, 11, v96
	v_mul_lo_u16_e32 v97, 12, v96
	v_sub_u16_e32 v97, v187, v97
	v_and_b32_e32 v97, 0xff, v97
	v_lshlrev_b32_e32 v98, 5, v97
	global_load_dwordx4 v[105:108], v98, s[14:15] offset:176
	global_load_dwordx4 v[112:115], v98, s[14:15] offset:160
	s_waitcnt vmcnt(0) lgkmcnt(14)
	v_mul_f64 v[98:99], v[86:87], v[114:115]
	v_fma_f64 v[110:111], v[84:85], v[112:113], -v[98:99]
	v_mul_f64 v[84:85], v[84:85], v[114:115]
	buffer_store_dword v112, off, s[36:39], 0 offset:680 ; 4-byte Folded Spill
	s_nop 0
	buffer_store_dword v113, off, s[36:39], 0 offset:684 ; 4-byte Folded Spill
	buffer_store_dword v114, off, s[36:39], 0 offset:688 ; 4-byte Folded Spill
	;; [unrolled: 1-line block ×3, first 2 shown]
	v_fma_f64 v[112:113], v[86:87], v[112:113], v[84:85]
	s_waitcnt lgkmcnt(13)
	v_mul_f64 v[84:85], v[78:79], v[107:108]
	v_fma_f64 v[114:115], v[76:77], v[105:106], -v[84:85]
	v_mul_f64 v[76:77], v[76:77], v[107:108]
	buffer_store_dword v105, off, s[36:39], 0 offset:664 ; 4-byte Folded Spill
	s_nop 0
	buffer_store_dword v106, off, s[36:39], 0 offset:668 ; 4-byte Folded Spill
	buffer_store_dword v107, off, s[36:39], 0 offset:672 ; 4-byte Folded Spill
	;; [unrolled: 1-line block ×3, first 2 shown]
	v_fma_f64 v[116:117], v[78:79], v[105:106], v[76:77]
	v_mul_lo_u16_sdwa v76, v100, s2 dst_sel:DWORD dst_unused:UNUSED_PAD src0_sel:BYTE_0 src1_sel:DWORD
	v_lshrrev_b16_e32 v84, 11, v76
	v_mul_lo_u16_e32 v76, 12, v84
	v_sub_u16_e32 v76, v100, v76
	v_and_b32_e32 v85, 0xff, v76
	v_lshlrev_b32_e32 v76, 5, v85
	global_load_dwordx4 v[105:108], v76, s[14:15] offset:176
	global_load_dwordx4 v[118:121], v76, s[14:15] offset:160
	s_waitcnt vmcnt(0)
	v_mul_f64 v[76:77], v[74:75], v[120:121]
	v_fma_f64 v[76:77], v[72:73], v[118:119], -v[76:77]
	v_mul_f64 v[72:73], v[72:73], v[120:121]
	buffer_store_dword v118, off, s[36:39], 0 offset:712 ; 4-byte Folded Spill
	s_nop 0
	buffer_store_dword v119, off, s[36:39], 0 offset:716 ; 4-byte Folded Spill
	buffer_store_dword v120, off, s[36:39], 0 offset:720 ; 4-byte Folded Spill
	;; [unrolled: 1-line block ×3, first 2 shown]
	v_fma_f64 v[72:73], v[74:75], v[118:119], v[72:73]
	s_waitcnt lgkmcnt(12)
	v_mul_f64 v[74:75], v[70:71], v[107:108]
	v_fma_f64 v[74:75], v[68:69], v[105:106], -v[74:75]
	v_mul_f64 v[68:69], v[68:69], v[107:108]
	buffer_store_dword v105, off, s[36:39], 0 offset:696 ; 4-byte Folded Spill
	s_nop 0
	buffer_store_dword v106, off, s[36:39], 0 offset:700 ; 4-byte Folded Spill
	buffer_store_dword v107, off, s[36:39], 0 offset:704 ; 4-byte Folded Spill
	;; [unrolled: 1-line block ×3, first 2 shown]
	v_fma_f64 v[78:79], v[70:71], v[105:106], v[68:69]
	v_mul_lo_u16_sdwa v68, v150, s2 dst_sel:DWORD dst_unused:UNUSED_PAD src0_sel:BYTE_0 src1_sel:DWORD
	v_lshrrev_b16_e32 v86, 11, v68
	v_mul_lo_u16_e32 v68, 12, v86
	v_sub_u16_e32 v68, v150, v68
	v_and_b32_e32 v87, 0xff, v68
	v_lshlrev_b32_e32 v68, 5, v87
	global_load_dwordx4 v[105:108], v68, s[14:15] offset:176
	global_load_dwordx4 v[118:121], v68, s[14:15] offset:160
	s_waitcnt vmcnt(0) lgkmcnt(9)
	v_mul_f64 v[68:69], v[66:67], v[120:121]
	v_fma_f64 v[68:69], v[64:65], v[118:119], -v[68:69]
	v_mul_f64 v[64:65], v[64:65], v[120:121]
	buffer_store_dword v118, off, s[36:39], 0 offset:744 ; 4-byte Folded Spill
	s_nop 0
	buffer_store_dword v119, off, s[36:39], 0 offset:748 ; 4-byte Folded Spill
	buffer_store_dword v120, off, s[36:39], 0 offset:752 ; 4-byte Folded Spill
	;; [unrolled: 1-line block ×3, first 2 shown]
	v_fma_f64 v[64:65], v[66:67], v[118:119], v[64:65]
	s_waitcnt lgkmcnt(7)
	v_mul_f64 v[66:67], v[62:63], v[107:108]
	v_fma_f64 v[66:67], v[60:61], v[105:106], -v[66:67]
	v_mul_f64 v[60:61], v[60:61], v[107:108]
	buffer_store_dword v105, off, s[36:39], 0 offset:728 ; 4-byte Folded Spill
	s_nop 0
	buffer_store_dword v106, off, s[36:39], 0 offset:732 ; 4-byte Folded Spill
	buffer_store_dword v107, off, s[36:39], 0 offset:736 ; 4-byte Folded Spill
	;; [unrolled: 1-line block ×3, first 2 shown]
	v_fma_f64 v[70:71], v[62:63], v[105:106], v[60:61]
	v_mul_lo_u16_sdwa v60, v102, s2 dst_sel:DWORD dst_unused:UNUSED_PAD src0_sel:BYTE_0 src1_sel:DWORD
	v_lshrrev_b16_e32 v98, 11, v60
	v_mul_lo_u16_e32 v60, 12, v98
	v_sub_u16_e32 v60, v102, v60
	v_and_b32_e32 v99, 0xff, v60
	v_lshlrev_b32_e32 v60, 5, v99
	global_load_dwordx4 v[105:108], v60, s[14:15] offset:176
	global_load_dwordx4 v[118:121], v60, s[14:15] offset:160
	s_mov_b32 s2, 0xaaab
	s_waitcnt vmcnt(0)
	v_mul_f64 v[60:61], v[58:59], v[120:121]
	v_fma_f64 v[60:61], v[56:57], v[118:119], -v[60:61]
	v_mul_f64 v[56:57], v[56:57], v[120:121]
	buffer_store_dword v118, off, s[36:39], 0 offset:776 ; 4-byte Folded Spill
	s_nop 0
	buffer_store_dword v119, off, s[36:39], 0 offset:780 ; 4-byte Folded Spill
	buffer_store_dword v120, off, s[36:39], 0 offset:784 ; 4-byte Folded Spill
	;; [unrolled: 1-line block ×3, first 2 shown]
	v_fma_f64 v[56:57], v[58:59], v[118:119], v[56:57]
	s_waitcnt lgkmcnt(6)
	v_mul_f64 v[58:59], v[54:55], v[107:108]
	v_fma_f64 v[58:59], v[52:53], v[105:106], -v[58:59]
	v_mul_f64 v[52:53], v[52:53], v[107:108]
	buffer_store_dword v105, off, s[36:39], 0 offset:760 ; 4-byte Folded Spill
	s_nop 0
	buffer_store_dword v106, off, s[36:39], 0 offset:764 ; 4-byte Folded Spill
	buffer_store_dword v107, off, s[36:39], 0 offset:768 ; 4-byte Folded Spill
	;; [unrolled: 1-line block ×3, first 2 shown]
	v_mov_b32_e32 v108, s15
	v_fma_f64 v[62:63], v[54:55], v[105:106], v[52:53]
	v_mul_u32_u24_sdwa v52, v104, s2 dst_sel:DWORD dst_unused:UNUSED_PAD src0_sel:WORD_0 src1_sel:DWORD
	v_lshrrev_b32_e32 v105, 19, v52
	v_mul_lo_u16_e32 v52, 12, v105
	v_sub_u16_e32 v104, v104, v52
	v_lshlrev_b16_e32 v52, 5, v104
	v_add_co_u32_e32 v52, vcc, s14, v52
	v_addc_co_u32_e32 v53, vcc, 0, v108, vcc
	global_load_dwordx4 v[118:121], v[52:53], off offset:176
	global_load_dwordx4 v[122:125], v[52:53], off offset:160
	s_waitcnt vmcnt(0) lgkmcnt(3)
	v_mul_f64 v[52:53], v[50:51], v[124:125]
	v_fma_f64 v[52:53], v[48:49], v[122:123], -v[52:53]
	v_mul_f64 v[48:49], v[48:49], v[124:125]
	buffer_store_dword v122, off, s[36:39], 0 offset:808 ; 4-byte Folded Spill
	s_nop 0
	buffer_store_dword v123, off, s[36:39], 0 offset:812 ; 4-byte Folded Spill
	buffer_store_dword v124, off, s[36:39], 0 offset:816 ; 4-byte Folded Spill
	;; [unrolled: 1-line block ×3, first 2 shown]
	v_fma_f64 v[50:51], v[50:51], v[122:123], v[48:49]
	s_waitcnt lgkmcnt(1)
	v_mul_f64 v[48:49], v[46:47], v[120:121]
	v_fma_f64 v[48:49], v[44:45], v[118:119], -v[48:49]
	v_mul_f64 v[44:45], v[44:45], v[120:121]
	buffer_store_dword v118, off, s[36:39], 0 offset:792 ; 4-byte Folded Spill
	s_nop 0
	buffer_store_dword v119, off, s[36:39], 0 offset:796 ; 4-byte Folded Spill
	buffer_store_dword v120, off, s[36:39], 0 offset:800 ; 4-byte Folded Spill
	;; [unrolled: 1-line block ×3, first 2 shown]
	v_fma_f64 v[54:55], v[46:47], v[118:119], v[44:45]
	v_mul_u32_u24_sdwa v44, v103, s2 dst_sel:DWORD dst_unused:UNUSED_PAD src0_sel:WORD_0 src1_sel:DWORD
	v_lshrrev_b32_e32 v106, 19, v44
	v_mul_lo_u16_e32 v44, 12, v106
	v_sub_u16_e32 v103, v103, v44
	v_lshlrev_b16_e32 v44, 5, v103
	v_add_co_u32_e32 v44, vcc, s14, v44
	v_addc_co_u32_e32 v45, vcc, 0, v108, vcc
	global_load_dwordx4 v[118:121], v[44:45], off offset:176
	global_load_dwordx4 v[122:125], v[44:45], off offset:160
	s_waitcnt vmcnt(0)
	v_mul_f64 v[44:45], v[42:43], v[124:125]
	v_fma_f64 v[44:45], v[40:41], v[122:123], -v[44:45]
	v_mul_f64 v[40:41], v[40:41], v[124:125]
	buffer_store_dword v122, off, s[36:39], 0 offset:840 ; 4-byte Folded Spill
	s_nop 0
	buffer_store_dword v123, off, s[36:39], 0 offset:844 ; 4-byte Folded Spill
	buffer_store_dword v124, off, s[36:39], 0 offset:848 ; 4-byte Folded Spill
	;; [unrolled: 1-line block ×3, first 2 shown]
	v_fma_f64 v[40:41], v[42:43], v[122:123], v[40:41]
	s_waitcnt lgkmcnt(0)
	v_mul_f64 v[42:43], v[38:39], v[120:121]
	v_fma_f64 v[42:43], v[36:37], v[118:119], -v[42:43]
	v_mul_f64 v[36:37], v[36:37], v[120:121]
	buffer_store_dword v118, off, s[36:39], 0 offset:824 ; 4-byte Folded Spill
	s_nop 0
	buffer_store_dword v119, off, s[36:39], 0 offset:828 ; 4-byte Folded Spill
	buffer_store_dword v120, off, s[36:39], 0 offset:832 ; 4-byte Folded Spill
	;; [unrolled: 1-line block ×3, first 2 shown]
	v_fma_f64 v[46:47], v[38:39], v[118:119], v[36:37]
	v_mul_u32_u24_sdwa v36, v101, s2 dst_sel:DWORD dst_unused:UNUSED_PAD src0_sel:WORD_0 src1_sel:DWORD
	v_lshrrev_b32_e32 v107, 19, v36
	v_mul_lo_u16_e32 v36, 12, v107
	v_sub_u16_e32 v101, v101, v36
	v_lshlrev_b16_e32 v36, 5, v101
	v_add_co_u32_e32 v36, vcc, s14, v36
	v_addc_co_u32_e32 v37, vcc, 0, v108, vcc
	global_load_dwordx4 v[188:191], v[36:37], off offset:176
	global_load_dwordx4 v[192:195], v[36:37], off offset:160
	v_add_f64 v[108:109], v[112:113], -v[116:117]
	s_mov_b32 s2, 0xe8584caa
	s_mov_b32 s3, 0x3febb67a
	;; [unrolled: 1-line block ×3, first 2 shown]
	s_waitcnt lgkmcnt(0)
	; wave barrier
	s_waitcnt vmcnt(0)
	v_mul_f64 v[36:37], v[22:23], v[194:195]
	v_fma_f64 v[36:37], v[20:21], v[192:193], -v[36:37]
	v_mul_f64 v[20:21], v[20:21], v[194:195]
	v_fma_f64 v[38:39], v[22:23], v[192:193], v[20:21]
	v_mul_f64 v[22:23], v[24:25], v[190:191]
	v_mul_f64 v[20:21], v[26:27], v[190:191]
	v_fma_f64 v[22:23], v[26:27], v[188:189], v[22:23]
	v_add_f64 v[26:27], v[110:111], v[114:115]
	v_fma_f64 v[20:21], v[24:25], v[188:189], -v[20:21]
	v_add_f64 v[24:25], v[32:33], v[110:111]
	v_add_f64 v[110:111], v[110:111], -v[114:115]
	v_fma_f64 v[26:27], v[26:27], -0.5, v[32:33]
	v_add_f64 v[24:25], v[24:25], v[114:115]
	v_add_f64 v[114:115], v[76:77], v[74:75]
	v_fma_f64 v[32:33], v[108:109], s[2:3], v[26:27]
	v_fma_f64 v[108:109], v[108:109], s[6:7], v[26:27]
	v_add_f64 v[26:27], v[34:35], v[112:113]
	v_add_f64 v[112:113], v[112:113], v[116:117]
	v_fma_f64 v[114:115], v[114:115], -0.5, v[28:29]
	v_add_f64 v[26:27], v[26:27], v[116:117]
	v_fma_f64 v[112:113], v[112:113], -0.5, v[34:35]
	v_add_f64 v[116:117], v[72:73], -v[78:79]
	v_fma_f64 v[34:35], v[110:111], s[6:7], v[112:113]
	v_fma_f64 v[110:111], v[110:111], s[2:3], v[112:113]
	v_add_f64 v[112:113], v[28:29], v[76:77]
	v_fma_f64 v[28:29], v[116:117], s[2:3], v[114:115]
	v_fma_f64 v[116:117], v[116:117], s[6:7], v[114:115]
	v_add_f64 v[114:115], v[30:31], v[72:73]
	v_add_f64 v[72:73], v[72:73], v[78:79]
	;; [unrolled: 1-line block ×3, first 2 shown]
	v_add_f64 v[74:75], v[76:77], -v[74:75]
	v_add_f64 v[76:77], v[64:65], -v[70:71]
	v_add_f64 v[114:115], v[114:115], v[78:79]
	v_fma_f64 v[72:73], v[72:73], -0.5, v[30:31]
	v_fma_f64 v[30:31], v[74:75], s[6:7], v[72:73]
	v_fma_f64 v[118:119], v[74:75], s[2:3], v[72:73]
	v_add_f64 v[74:75], v[68:69], v[66:67]
	v_add_f64 v[72:73], v[16:17], v[68:69]
	v_fma_f64 v[74:75], v[74:75], -0.5, v[16:17]
	v_add_f64 v[72:73], v[72:73], v[66:67]
	v_add_f64 v[66:67], v[68:69], -v[66:67]
	v_add_f64 v[68:69], v[56:57], -v[62:63]
	v_fma_f64 v[16:17], v[76:77], s[2:3], v[74:75]
	v_fma_f64 v[120:121], v[76:77], s[6:7], v[74:75]
	v_add_f64 v[74:75], v[18:19], v[64:65]
	v_add_f64 v[64:65], v[64:65], v[70:71]
	;; [unrolled: 1-line block ×3, first 2 shown]
	v_fma_f64 v[64:65], v[64:65], -0.5, v[18:19]
	v_fma_f64 v[18:19], v[66:67], s[6:7], v[64:65]
	v_fma_f64 v[122:123], v[66:67], s[2:3], v[64:65]
	v_add_f64 v[66:67], v[60:61], v[58:59]
	v_add_f64 v[64:65], v[12:13], v[60:61]
	v_fma_f64 v[66:67], v[66:67], -0.5, v[12:13]
	v_add_f64 v[64:65], v[64:65], v[58:59]
	v_add_f64 v[58:59], v[60:61], -v[58:59]
	v_fma_f64 v[12:13], v[68:69], s[2:3], v[66:67]
	v_fma_f64 v[68:69], v[68:69], s[6:7], v[66:67]
	v_add_f64 v[66:67], v[14:15], v[56:57]
	v_add_f64 v[56:57], v[56:57], v[62:63]
	;; [unrolled: 1-line block ×3, first 2 shown]
	v_fma_f64 v[56:57], v[56:57], -0.5, v[14:15]
	v_fma_f64 v[14:15], v[58:59], s[6:7], v[56:57]
	v_fma_f64 v[70:71], v[58:59], s[2:3], v[56:57]
	v_add_f64 v[58:59], v[52:53], v[48:49]
	v_add_f64 v[56:57], v[8:9], v[52:53]
	v_fma_f64 v[8:9], v[58:59], -0.5, v[8:9]
	v_add_f64 v[58:59], v[50:51], -v[54:55]
	v_add_f64 v[56:57], v[56:57], v[48:49]
	v_fma_f64 v[60:61], v[58:59], s[2:3], v[8:9]
	v_fma_f64 v[124:125], v[58:59], s[6:7], v[8:9]
	v_add_f64 v[8:9], v[10:11], v[50:51]
	v_add_f64 v[58:59], v[8:9], v[54:55]
	;; [unrolled: 1-line block ×3, first 2 shown]
	v_fma_f64 v[8:9], v[8:9], -0.5, v[10:11]
	v_add_f64 v[10:11], v[52:53], -v[48:49]
	v_fma_f64 v[62:63], v[10:11], s[6:7], v[8:9]
	v_fma_f64 v[126:127], v[10:11], s[2:3], v[8:9]
	v_add_f64 v[8:9], v[4:5], v[44:45]
	v_add_f64 v[10:11], v[36:37], -v[20:21]
	v_add_f64 v[48:49], v[8:9], v[42:43]
	v_add_f64 v[8:9], v[44:45], v[42:43]
	v_fma_f64 v[4:5], v[8:9], -0.5, v[4:5]
	v_add_f64 v[8:9], v[40:41], -v[46:47]
	v_fma_f64 v[52:53], v[8:9], s[2:3], v[4:5]
	v_fma_f64 v[128:129], v[8:9], s[6:7], v[4:5]
	v_add_f64 v[4:5], v[6:7], v[40:41]
	v_add_f64 v[8:9], v[38:39], v[22:23]
	;; [unrolled: 1-line block ×4, first 2 shown]
	v_fma_f64 v[8:9], v[8:9], -0.5, v[2:3]
	v_mul_lo_u16_e32 v40, 36, v96
	v_and_b32_e32 v40, 0xfc, v40
	v_add_lshl_u32 v40, v40, v97, 4
	ds_write_b128 v40, v[24:27]
	ds_write_b128 v40, v[32:35] offset:192
	v_mul_u32_u24_e32 v24, 36, v84
	v_add_lshl_u32 v24, v24, v85, 4
	v_fma_f64 v[4:5], v[4:5], -0.5, v[6:7]
	v_add_f64 v[6:7], v[44:45], -v[42:43]
	buffer_store_dword v40, off, s[36:39], 0 offset:860 ; 4-byte Folded Spill
	ds_write_b128 v40, v[108:111] offset:384
	ds_write_b128 v24, v[112:115]
	ds_write_b128 v24, v[28:31] offset:192
	buffer_store_dword v24, off, s[36:39], 0 offset:864 ; 4-byte Folded Spill
	ds_write_b128 v24, v[116:119] offset:384
	v_mul_u32_u24_e32 v24, 36, v86
	v_fma_f64 v[78:79], v[10:11], s[2:3], v[8:9]
	v_fma_f64 v[54:55], v[6:7], s[6:7], v[4:5]
	;; [unrolled: 1-line block ×3, first 2 shown]
	v_add_f64 v[4:5], v[36:37], v[20:21]
	v_add_f64 v[6:7], v[38:39], -v[22:23]
	v_add_lshl_u32 v24, v24, v87, 4
	ds_write_b128 v24, v[72:75]
	ds_write_b128 v24, v[16:19] offset:192
	v_mul_u32_u24_e32 v16, 36, v98
	v_add_lshl_u32 v16, v16, v99, 4
	buffer_store_dword v24, off, s[36:39], 0 offset:868 ; 4-byte Folded Spill
	ds_write_b128 v24, v[120:123] offset:384
	v_fma_f64 v[4:5], v[4:5], -0.5, v[0:1]
	ds_write_b128 v16, v[64:67]
	ds_write_b128 v16, v[12:15] offset:192
	v_mad_legacy_u16 v12, v105, 36, v104
	v_lshlrev_b32_e32 v12, 4, v12
	buffer_store_dword v16, off, s[36:39], 0 offset:872 ; 4-byte Folded Spill
	ds_write_b128 v16, v[68:71] offset:384
	ds_write_b128 v12, v[56:59]
	ds_write_b128 v12, v[60:63] offset:192
	buffer_store_dword v12, off, s[36:39], 0 offset:876 ; 4-byte Folded Spill
	v_fma_f64 v[76:77], v[6:7], s[6:7], v[4:5]
	ds_write_b128 v12, v[124:127] offset:384
	v_mad_legacy_u16 v12, v106, 36, v103
	v_lshlrev_b32_e32 v12, 4, v12
	ds_write_b128 v12, v[48:51]
	ds_write_b128 v12, v[52:55] offset:192
	buffer_store_dword v12, off, s[36:39], 0 offset:880 ; 4-byte Folded Spill
	ds_write_b128 v12, v[128:131] offset:384
	v_mad_legacy_u16 v12, v107, 36, v101
	buffer_store_dword v12, off, s[36:39], 0 offset:856 ; 4-byte Folded Spill
	s_and_saveexec_b64 s[6:7], s[0:1]
	s_cbranch_execz .LBB0_9
; %bb.8:
	v_add_f64 v[0:1], v[0:1], v[36:37]
	v_mul_f64 v[14:15], v[6:7], s[2:3]
	v_mul_f64 v[10:11], v[10:11], s[2:3]
	v_add_f64 v[12:13], v[2:3], v[38:39]
	v_add_f64 v[6:7], v[0:1], v[20:21]
	;; [unrolled: 1-line block ×3, first 2 shown]
	buffer_load_dword v4, off, s[36:39], 0 offset:856 ; 4-byte Folded Reload
	v_add_f64 v[2:3], v[8:9], -v[10:11]
	v_add_f64 v[8:9], v[12:13], v[22:23]
	s_waitcnt vmcnt(0)
	v_lshlrev_b32_e32 v4, 4, v4
	ds_write_b128 v4, v[6:9]
	ds_write_b128 v4, v[0:3] offset:192
	ds_write_b128 v4, v[76:79] offset:384
.LBB0_9:
	s_or_b64 exec, exec, s[6:7]
	s_movk_i32 s2, 0xffdc
	v_add_co_u32_e32 v28, vcc, s2, v187
	v_addc_co_u32_e64 v29, s[2:3], 0, -1, vcc
	v_cmp_gt_u16_e32 vcc, 36, v187
	v_cndmask_b32_e64 v71, v29, 0, vcc
	v_cndmask_b32_e32 v70, v28, v187, vcc
	v_lshlrev_b64 v[28:29], 6, v[70:71]
	v_mov_b32_e32 v42, s15
	v_add_co_u32_e32 v28, vcc, s14, v28
	v_addc_co_u32_e32 v29, vcc, v42, v29, vcc
	s_waitcnt lgkmcnt(0)
	; wave barrier
	s_waitcnt lgkmcnt(0)
	ds_read_b128 v[30:33], v156
	ds_read_b128 v[0:3], v156 offset:4032
	ds_read_b128 v[4:7], v156 offset:8064
	;; [unrolled: 1-line block ×19, first 2 shown]
	global_load_dwordx4 v[196:199], v[28:29], off offset:592
	global_load_dwordx4 v[200:203], v[28:29], off offset:576
	;; [unrolled: 1-line block ×4, first 2 shown]
	s_mov_b32 s16, 0x134454ff
	s_mov_b32 s17, 0x3fee6f0e
	;; [unrolled: 1-line block ×10, first 2 shown]
	v_cmp_lt_u16_e32 vcc, 35, v187
	s_waitcnt vmcnt(0) lgkmcnt(14)
	v_mul_f64 v[28:29], v[2:3], v[210:211]
	v_fma_f64 v[54:55], v[0:1], v[208:209], -v[28:29]
	v_mul_f64 v[0:1], v[0:1], v[210:211]
	v_fma_f64 v[42:43], v[2:3], v[208:209], v[0:1]
	v_mul_f64 v[0:1], v[6:7], v[206:207]
	v_mov_b32_e32 v2, 57
	v_fma_f64 v[58:59], v[4:5], v[204:205], -v[0:1]
	v_mul_f64 v[0:1], v[4:5], v[206:207]
	v_fma_f64 v[44:45], v[6:7], v[204:205], v[0:1]
	v_mul_f64 v[0:1], v[48:49], v[202:203]
	v_fma_f64 v[136:137], v[46:47], v[200:201], -v[0:1]
	v_mul_f64 v[0:1], v[46:47], v[202:203]
	v_fma_f64 v[46:47], v[48:49], v[200:201], v[0:1]
	v_mul_f64 v[0:1], v[52:53], v[198:199]
	v_fma_f64 v[138:139], v[50:51], v[196:197], -v[0:1]
	v_mul_f64 v[0:1], v[50:51], v[198:199]
	v_fma_f64 v[50:51], v[52:53], v[196:197], v[0:1]
	v_mul_lo_u16_sdwa v0, v100, v2 dst_sel:DWORD dst_unused:UNUSED_PAD src0_sel:BYTE_0 src1_sel:DWORD
	v_lshrrev_b16_e32 v108, 11, v0
	v_mul_lo_u16_e32 v0, 36, v108
	v_sub_u16_e32 v0, v100, v0
	v_and_b32_e32 v109, 0xff, v0
	v_lshlrev_b32_e32 v0, 6, v109
	global_load_dwordx4 v[212:215], v0, s[14:15] offset:592
	global_load_dwordx4 v[216:219], v0, s[14:15] offset:576
	;; [unrolled: 1-line block ×4, first 2 shown]
	s_waitcnt vmcnt(0) lgkmcnt(13)
	v_mul_f64 v[0:1], v[62:63], v[226:227]
	v_fma_f64 v[48:49], v[60:61], v[224:225], -v[0:1]
	v_mul_f64 v[0:1], v[60:61], v[226:227]
	v_fma_f64 v[56:57], v[62:63], v[224:225], v[0:1]
	s_waitcnt lgkmcnt(12)
	v_mul_f64 v[0:1], v[66:67], v[222:223]
	v_fma_f64 v[52:53], v[64:65], v[220:221], -v[0:1]
	v_mul_f64 v[0:1], v[64:65], v[222:223]
	v_fma_f64 v[60:61], v[66:67], v[220:221], v[0:1]
	s_waitcnt lgkmcnt(11)
	;; [unrolled: 5-line block ×3, first 2 shown]
	v_mul_f64 v[0:1], v[86:87], v[214:215]
	v_fma_f64 v[130:131], v[84:85], v[212:213], -v[0:1]
	v_mul_f64 v[0:1], v[84:85], v[214:215]
	v_fma_f64 v[64:65], v[86:87], v[212:213], v[0:1]
	v_mul_lo_u16_sdwa v0, v150, v2 dst_sel:DWORD dst_unused:UNUSED_PAD src0_sel:BYTE_0 src1_sel:DWORD
	v_lshrrev_b16_e32 v110, 11, v0
	v_mul_lo_u16_e32 v0, 36, v110
	v_sub_u16_e32 v0, v150, v0
	v_and_b32_e32 v111, 0xff, v0
	v_lshlrev_b32_e32 v0, 6, v111
	global_load_dwordx4 v[228:231], v0, s[14:15] offset:592
	global_load_dwordx4 v[232:235], v0, s[14:15] offset:576
	;; [unrolled: 1-line block ×4, first 2 shown]
	s_waitcnt vmcnt(0) lgkmcnt(8)
	v_mul_f64 v[0:1], v[98:99], v[246:247]
	v_fma_f64 v[68:69], v[96:97], v[244:245], -v[0:1]
	v_mul_f64 v[0:1], v[96:97], v[246:247]
	v_fma_f64 v[71:72], v[98:99], v[244:245], v[0:1]
	s_waitcnt lgkmcnt(7)
	v_mul_f64 v[0:1], v[105:106], v[238:239]
	v_fma_f64 v[96:97], v[103:104], v[236:237], -v[0:1]
	v_mul_f64 v[0:1], v[103:104], v[238:239]
	v_fma_f64 v[73:74], v[105:106], v[236:237], v[0:1]
	s_waitcnt lgkmcnt(6)
	;; [unrolled: 5-line block ×3, first 2 shown]
	v_mul_f64 v[0:1], v[118:119], v[230:231]
	v_add_f64 v[114:115], v[66:67], -v[130:131]
	v_fma_f64 v[120:121], v[116:117], v[228:229], -v[0:1]
	v_mul_f64 v[0:1], v[116:117], v[230:231]
	v_add_f64 v[116:117], v[100:101], -v[120:121]
	v_fma_f64 v[86:87], v[118:119], v[228:229], v[0:1]
	v_mul_lo_u16_sdwa v0, v102, v2 dst_sel:DWORD dst_unused:UNUSED_PAD src0_sel:BYTE_0 src1_sel:DWORD
	v_lshrrev_b16_e32 v112, 11, v0
	v_mul_lo_u16_e32 v0, 36, v112
	v_sub_u16_e32 v0, v102, v0
	v_and_b32_e32 v113, 0xff, v0
	v_lshlrev_b32_e32 v4, 6, v113
	global_load_dwordx4 v[248:251], v4, s[14:15] offset:592
	global_load_dwordx4 v[252:255], v4, s[14:15] offset:576
	global_load_dwordx4 v[0:3], v4, s[14:15] offset:560
	s_nop 0
	global_load_dwordx4 v[4:7], v4, s[14:15] offset:544
	s_waitcnt lgkmcnt(0)
	; wave barrier
	s_waitcnt vmcnt(0) lgkmcnt(0)
	v_mul_f64 v[28:29], v[40:41], v[6:7]
	v_fma_f64 v[122:123], v[38:39], v[4:5], -v[28:29]
	v_mul_f64 v[28:29], v[38:39], v[6:7]
	v_add_f64 v[38:39], v[136:137], -v[138:139]
	v_fma_f64 v[98:99], v[40:41], v[4:5], v[28:29]
	v_mul_f64 v[28:29], v[36:37], v[2:3]
	v_add_f64 v[40:41], v[42:43], -v[44:45]
	v_fma_f64 v[124:125], v[34:35], v[0:1], -v[28:29]
	v_mul_f64 v[28:29], v[34:35], v[2:3]
	v_add_f64 v[34:35], v[44:45], -v[46:47]
	v_fma_f64 v[102:103], v[36:37], v[0:1], v[28:29]
	v_mul_f64 v[28:29], v[26:27], v[254:255]
	v_add_f64 v[36:37], v[138:139], -v[136:137]
	;; [unrolled: 6-line block ×3, first 2 shown]
	v_add_f64 v[36:37], v[28:29], v[36:37]
	v_fma_f64 v[128:129], v[20:21], v[248:249], -v[24:25]
	v_mul_f64 v[20:21], v[20:21], v[250:251]
	v_fma_f64 v[106:107], v[22:23], v[248:249], v[20:21]
	v_add_f64 v[22:23], v[58:59], v[136:137]
	v_add_f64 v[20:21], v[30:31], v[54:55]
	v_fma_f64 v[22:23], v[22:23], -0.5, v[30:31]
	v_add_f64 v[20:21], v[20:21], v[58:59]
	v_fma_f64 v[24:25], v[26:27], s[16:17], v[22:23]
	v_fma_f64 v[22:23], v[26:27], s[18:19], v[22:23]
	v_add_f64 v[20:21], v[20:21], v[136:137]
	v_fma_f64 v[24:25], v[34:35], s[6:7], v[24:25]
	v_fma_f64 v[22:23], v[34:35], s[20:21], v[22:23]
	v_add_f64 v[20:21], v[20:21], v[138:139]
	v_fma_f64 v[28:29], v[36:37], s[2:3], v[24:25]
	v_fma_f64 v[24:25], v[36:37], s[2:3], v[22:23]
	v_add_f64 v[22:23], v[54:55], v[138:139]
	v_add_f64 v[36:37], v[58:59], -v[54:55]
	v_fma_f64 v[22:23], v[22:23], -0.5, v[30:31]
	v_add_f64 v[36:37], v[36:37], v[38:39]
	v_fma_f64 v[30:31], v[34:35], s[18:19], v[22:23]
	v_fma_f64 v[22:23], v[34:35], s[16:17], v[22:23]
	;; [unrolled: 1-line block ×4, first 2 shown]
	v_add_f64 v[26:27], v[44:45], v[46:47]
	v_fma_f64 v[38:39], v[36:37], s[2:3], v[30:31]
	v_fma_f64 v[34:35], v[36:37], s[2:3], v[22:23]
	v_fma_f64 v[26:27], v[26:27], -0.5, v[32:33]
	v_add_f64 v[36:37], v[54:55], -v[138:139]
	v_add_f64 v[54:55], v[58:59], -v[136:137]
	;; [unrolled: 1-line block ×3, first 2 shown]
	v_add_f64 v[22:23], v[32:33], v[42:43]
	v_fma_f64 v[30:31], v[36:37], s[18:19], v[26:27]
	v_fma_f64 v[26:27], v[36:37], s[16:17], v[26:27]
	v_add_f64 v[40:41], v[40:41], v[58:59]
	v_add_f64 v[22:23], v[22:23], v[44:45]
	v_add_f64 v[58:59], v[130:131], -v[66:67]
	v_fma_f64 v[30:31], v[54:55], s[20:21], v[30:31]
	v_fma_f64 v[26:27], v[54:55], s[6:7], v[26:27]
	v_add_f64 v[22:23], v[22:23], v[46:47]
	v_fma_f64 v[30:31], v[40:41], s[2:3], v[30:31]
	v_fma_f64 v[26:27], v[40:41], s[2:3], v[26:27]
	v_add_f64 v[40:41], v[42:43], v[50:51]
	v_add_f64 v[42:43], v[44:45], -v[42:43]
	v_add_f64 v[44:45], v[46:47], -v[50:51]
	v_add_f64 v[22:23], v[22:23], v[50:51]
	v_add_f64 v[50:51], v[48:49], -v[52:53]
	v_fma_f64 v[32:33], v[40:41], -0.5, v[32:33]
	v_add_f64 v[42:43], v[42:43], v[44:45]
	v_add_f64 v[44:45], v[56:57], -v[64:65]
	v_add_f64 v[58:59], v[50:51], v[58:59]
	v_fma_f64 v[40:41], v[54:55], s[16:17], v[32:33]
	v_fma_f64 v[32:33], v[54:55], s[18:19], v[32:33]
	v_add_f64 v[54:55], v[60:61], -v[62:63]
	v_fma_f64 v[40:41], v[36:37], s[20:21], v[40:41]
	v_fma_f64 v[32:33], v[36:37], s[6:7], v[32:33]
	;; [unrolled: 1-line block ×4, first 2 shown]
	v_add_f64 v[32:33], v[8:9], v[48:49]
	v_add_f64 v[32:33], v[32:33], v[52:53]
	;; [unrolled: 1-line block ×5, first 2 shown]
	v_add_f64 v[66:67], v[52:53], -v[66:67]
	v_fma_f64 v[32:33], v[32:33], -0.5, v[8:9]
	v_fma_f64 v[46:47], v[44:45], s[16:17], v[32:33]
	v_fma_f64 v[32:33], v[44:45], s[18:19], v[32:33]
	;; [unrolled: 1-line block ×6, first 2 shown]
	v_add_f64 v[32:33], v[48:49], v[130:131]
	v_add_f64 v[58:59], v[52:53], -v[48:49]
	v_add_f64 v[52:53], v[56:57], -v[60:61]
	v_fma_f64 v[8:9], v[32:33], -0.5, v[8:9]
	v_add_f64 v[114:115], v[58:59], v[114:115]
	v_fma_f64 v[32:33], v[54:55], s[18:19], v[8:9]
	v_fma_f64 v[8:9], v[54:55], s[16:17], v[8:9]
	;; [unrolled: 1-line block ×6, first 2 shown]
	v_add_f64 v[8:9], v[10:11], v[56:57]
	v_add_f64 v[32:33], v[48:49], -v[130:131]
	v_add_f64 v[114:115], v[64:65], -v[62:63]
	v_add_f64 v[8:9], v[8:9], v[60:61]
	v_add_f64 v[114:115], v[52:53], v[114:115]
	;; [unrolled: 1-line block ×5, first 2 shown]
	v_fma_f64 v[8:9], v[8:9], -0.5, v[10:11]
	v_fma_f64 v[48:49], v[32:33], s[18:19], v[8:9]
	v_fma_f64 v[8:9], v[32:33], s[16:17], v[8:9]
	;; [unrolled: 1-line block ×6, first 2 shown]
	v_add_f64 v[8:9], v[56:57], v[64:65]
	v_add_f64 v[56:57], v[60:61], -v[56:57]
	v_add_f64 v[60:61], v[62:63], -v[64:65]
	;; [unrolled: 1-line block ×4, first 2 shown]
	v_fma_f64 v[8:9], v[8:9], -0.5, v[10:11]
	v_add_f64 v[56:57], v[56:57], v[60:61]
	v_fma_f64 v[10:11], v[66:67], s[16:17], v[8:9]
	v_fma_f64 v[8:9], v[66:67], s[18:19], v[8:9]
	v_add_f64 v[66:67], v[68:69], -v[96:97]
	v_fma_f64 v[10:11], v[32:33], s[20:21], v[10:11]
	v_fma_f64 v[8:9], v[32:33], s[6:7], v[8:9]
	v_add_f64 v[114:115], v[66:67], v[114:115]
	v_fma_f64 v[60:61], v[56:57], s[2:3], v[10:11]
	v_fma_f64 v[56:57], v[56:57], s[2:3], v[8:9]
	v_add_f64 v[8:9], v[16:17], v[68:69]
	v_add_f64 v[10:11], v[71:72], -v[86:87]
	v_add_f64 v[8:9], v[8:9], v[96:97]
	v_add_f64 v[8:9], v[8:9], v[100:101]
	;; [unrolled: 1-line block ×4, first 2 shown]
	v_fma_f64 v[8:9], v[8:9], -0.5, v[16:17]
	v_fma_f64 v[32:33], v[10:11], s[16:17], v[8:9]
	v_fma_f64 v[8:9], v[10:11], s[18:19], v[8:9]
	;; [unrolled: 1-line block ×5, first 2 shown]
	v_add_f64 v[32:33], v[68:69], v[120:121]
	v_fma_f64 v[8:9], v[114:115], s[2:3], v[8:9]
	v_add_f64 v[114:115], v[96:97], -v[68:69]
	v_add_f64 v[96:97], v[96:97], -v[100:101]
	;; [unrolled: 1-line block ×3, first 2 shown]
	v_fma_f64 v[16:17], v[32:33], -0.5, v[16:17]
	v_add_f64 v[116:117], v[114:115], v[116:117]
	v_fma_f64 v[32:33], v[64:65], s[18:19], v[16:17]
	v_fma_f64 v[16:17], v[64:65], s[16:17], v[16:17]
	;; [unrolled: 1-line block ×4, first 2 shown]
	v_add_f64 v[16:17], v[68:69], -v[120:121]
	v_add_f64 v[68:69], v[71:72], -v[73:74]
	v_fma_f64 v[114:115], v[116:117], s[2:3], v[32:33]
	v_fma_f64 v[118:119], v[116:117], s[2:3], v[10:11]
	v_add_f64 v[10:11], v[18:19], v[71:72]
	v_add_f64 v[100:101], v[68:69], v[100:101]
	;; [unrolled: 1-line block ×6, first 2 shown]
	v_fma_f64 v[10:11], v[10:11], -0.5, v[18:19]
	v_fma_f64 v[32:33], v[16:17], s[18:19], v[10:11]
	v_fma_f64 v[10:11], v[16:17], s[16:17], v[10:11]
	;; [unrolled: 1-line block ×5, first 2 shown]
	v_add_f64 v[32:33], v[71:72], v[86:87]
	v_add_f64 v[71:72], v[73:74], -v[71:72]
	v_add_f64 v[73:74], v[84:85], -v[86:87]
	;; [unrolled: 1-line block ×4, first 2 shown]
	v_fma_f64 v[10:11], v[100:101], s[2:3], v[10:11]
	v_fma_f64 v[18:19], v[32:33], -0.5, v[18:19]
	v_add_f64 v[71:72], v[71:72], v[73:74]
	v_add_f64 v[74:75], v[102:103], -v[104:105]
	v_add_f64 v[86:87], v[84:85], v[86:87]
	v_fma_f64 v[32:33], v[96:97], s[16:17], v[18:19]
	v_fma_f64 v[18:19], v[96:97], s[18:19], v[18:19]
	v_add_f64 v[96:97], v[126:127], -v[128:129]
	v_fma_f64 v[32:33], v[16:17], s[20:21], v[32:33]
	v_fma_f64 v[16:17], v[16:17], s[6:7], v[18:19]
	v_add_f64 v[18:19], v[98:99], -v[106:107]
	v_fma_f64 v[116:117], v[71:72], s[2:3], v[32:33]
	v_fma_f64 v[120:121], v[71:72], s[2:3], v[16:17]
	v_add_f64 v[16:17], v[12:13], v[122:123]
	v_add_f64 v[16:17], v[16:17], v[124:125]
	;; [unrolled: 1-line block ×5, first 2 shown]
	v_fma_f64 v[16:17], v[16:17], -0.5, v[12:13]
	v_fma_f64 v[32:33], v[18:19], s[16:17], v[16:17]
	v_fma_f64 v[16:17], v[18:19], s[18:19], v[16:17]
	;; [unrolled: 1-line block ×5, first 2 shown]
	v_add_f64 v[32:33], v[122:123], v[128:129]
	v_fma_f64 v[16:17], v[86:87], s[2:3], v[16:17]
	v_add_f64 v[86:87], v[124:125], -v[122:123]
	v_fma_f64 v[12:13], v[32:33], -0.5, v[12:13]
	v_add_f64 v[86:87], v[86:87], v[96:97]
	v_fma_f64 v[32:33], v[74:75], s[18:19], v[12:13]
	v_fma_f64 v[12:13], v[74:75], s[16:17], v[12:13]
	;; [unrolled: 1-line block ×6, first 2 shown]
	v_add_f64 v[12:13], v[14:15], v[98:99]
	v_add_f64 v[32:33], v[122:123], -v[128:129]
	v_add_f64 v[122:123], v[124:125], -v[126:127]
	;; [unrolled: 1-line block ×4, first 2 shown]
	v_add_f64 v[12:13], v[12:13], v[102:103]
	v_add_f64 v[124:125], v[86:87], v[124:125]
	;; [unrolled: 1-line block ×5, first 2 shown]
	v_fma_f64 v[12:13], v[12:13], -0.5, v[14:15]
	v_fma_f64 v[18:19], v[32:33], s[18:19], v[12:13]
	v_fma_f64 v[12:13], v[32:33], s[16:17], v[12:13]
	;; [unrolled: 1-line block ×6, first 2 shown]
	v_add_f64 v[12:13], v[98:99], v[106:107]
	v_add_f64 v[98:99], v[102:103], -v[98:99]
	v_add_f64 v[102:103], v[104:105], -v[106:107]
	v_fma_f64 v[12:13], v[12:13], -0.5, v[14:15]
	v_add_f64 v[102:103], v[98:99], v[102:103]
	v_fma_f64 v[14:15], v[122:123], s[16:17], v[12:13]
	v_fma_f64 v[12:13], v[122:123], s[18:19], v[12:13]
	;; [unrolled: 1-line block ×6, first 2 shown]
	v_mov_b32_e32 v12, 0xb4
	v_cndmask_b32_e32 v12, 0, v12, vcc
	v_add_lshl_u32 v12, v70, v12, 4
	ds_write_b128 v12, v[20:23]
	ds_write_b128 v12, v[28:31] offset:576
	ds_write_b128 v12, v[38:41] offset:1152
	ds_write_b128 v12, v[34:37] offset:1728
	buffer_store_dword v12, off, s[36:39], 0 offset:884 ; 4-byte Folded Spill
	ds_write_b128 v12, v[24:27] offset:2304
	v_mul_u32_u24_e32 v12, 0xb4, v108
	v_add_lshl_u32 v12, v12, v109, 4
	ds_write_b128 v12, v[42:45]
	ds_write_b128 v12, v[50:53] offset:576
	ds_write_b128 v12, v[58:61] offset:1152
	ds_write_b128 v12, v[54:57] offset:1728
	buffer_store_dword v12, off, s[36:39], 0 offset:888 ; 4-byte Folded Spill
	ds_write_b128 v12, v[46:49] offset:2304
	v_mul_u32_u24_e32 v12, 0xb4, v110
	;; [unrolled: 8-line block ×3, first 2 shown]
	v_add_lshl_u32 v12, v12, v113, 4
	ds_write_b128 v12, v[72:75]
	ds_write_b128 v12, v[84:87] offset:576
	ds_write_b128 v12, v[96:99] offset:1152
	;; [unrolled: 1-line block ×3, first 2 shown]
	buffer_store_dword v12, off, s[36:39], 0 offset:896 ; 4-byte Folded Spill
	ds_write_b128 v12, v[16:19] offset:2304
	s_waitcnt lgkmcnt(0)
	; wave barrier
	s_waitcnt lgkmcnt(0)
	ds_read_b128 v[24:27], v156
	ds_read_b128 v[68:71], v156 offset:2880
	ds_read_b128 v[60:63], v156 offset:5760
	;; [unrolled: 1-line block ×13, first 2 shown]
	v_cmp_gt_u16_e64 s[2:3], 54, v187
	s_and_saveexec_b64 s[6:7], s[2:3]
	s_cbranch_execz .LBB0_11
; %bb.10:
	ds_read_b128 v[8:11], v156 offset:2016
	ds_read_b128 v[72:75], v156 offset:4896
	;; [unrolled: 1-line block ×7, first 2 shown]
.LBB0_11:
	s_or_b64 exec, exec, s[6:7]
	v_mov_b32_e32 v21, s15
	s_movk_i32 s6, 0x60
	v_mov_b32_e32 v20, s14
	v_mad_u64_u32 v[136:137], s[6:7], v187, s6, v[20:21]
	s_movk_i32 s6, 0x17a0
	global_load_dwordx4 v[20:23], v[136:137], off offset:2896
	global_load_dwordx4 v[32:35], v[136:137], off offset:2880
	;; [unrolled: 1-line block ×4, first 2 shown]
	v_add_co_u32_e32 v140, vcc, s6, v136
	v_addc_co_u32_e32 v141, vcc, 0, v137, vcc
	s_mov_b32 s24, 0x37e14327
	s_mov_b32 s18, 0x36b3c0b5
	;; [unrolled: 1-line block ×18, first 2 shown]
	s_waitcnt vmcnt(0) lgkmcnt(12)
	v_mul_f64 v[108:109], v[70:71], v[46:47]
	v_fma_f64 v[142:143], v[68:69], v[44:45], -v[108:109]
	v_mul_f64 v[68:69], v[68:69], v[46:47]
	v_fma_f64 v[132:133], v[70:71], v[44:45], v[68:69]
	s_waitcnt lgkmcnt(11)
	v_mul_f64 v[68:69], v[62:63], v[38:39]
	v_fma_f64 v[144:145], v[60:61], v[36:37], -v[68:69]
	v_mul_f64 v[60:61], v[60:61], v[38:39]
	v_fma_f64 v[134:135], v[62:63], v[36:37], v[60:61]
	s_waitcnt lgkmcnt(10)
	;; [unrolled: 5-line block ×3, first 2 shown]
	v_mul_f64 v[56:57], v[54:55], v[22:23]
	v_fma_f64 v[110:111], v[52:53], v[20:21], -v[56:57]
	global_load_dwordx4 v[56:59], v[136:137], off offset:2928
	global_load_dwordx4 v[60:63], v[136:137], off offset:2912
	v_mul_f64 v[52:53], v[52:53], v[22:23]
	v_fma_f64 v[112:113], v[54:55], v[20:21], v[52:53]
	s_waitcnt vmcnt(0) lgkmcnt(8)
	v_mul_f64 v[52:53], v[50:51], v[62:63]
	v_fma_f64 v[114:115], v[48:49], v[60:61], -v[52:53]
	v_mul_f64 v[48:49], v[48:49], v[62:63]
	v_fma_f64 v[116:117], v[50:51], v[60:61], v[48:49]
	s_waitcnt lgkmcnt(7)
	v_mul_f64 v[48:49], v[42:43], v[58:59]
	v_fma_f64 v[118:119], v[40:41], v[56:57], -v[48:49]
	v_mul_f64 v[40:41], v[40:41], v[58:59]
	v_fma_f64 v[148:149], v[42:43], v[56:57], v[40:41]
	global_load_dwordx4 v[40:43], v[140:141], off offset:2896
	global_load_dwordx4 v[48:51], v[140:141], off offset:2880
	;; [unrolled: 1-line block ×4, first 2 shown]
	s_waitcnt vmcnt(0) lgkmcnt(5)
	v_mul_f64 v[136:137], v[130:131], v[70:71]
	v_fma_f64 v[136:137], v[128:129], v[68:69], -v[136:137]
	v_mul_f64 v[128:129], v[128:129], v[70:71]
	v_fma_f64 v[130:131], v[130:131], v[68:69], v[128:129]
	s_waitcnt lgkmcnt(4)
	v_mul_f64 v[128:129], v[126:127], v[54:55]
	v_fma_f64 v[128:129], v[124:125], v[52:53], -v[128:129]
	v_mul_f64 v[124:125], v[124:125], v[54:55]
	v_fma_f64 v[126:127], v[126:127], v[52:53], v[124:125]
	s_waitcnt lgkmcnt(3)
	;; [unrolled: 5-line block ×3, first 2 shown]
	v_mul_f64 v[122:123], v[66:67], v[42:43]
	v_fma_f64 v[122:123], v[64:65], v[40:41], -v[122:123]
	v_mul_f64 v[64:65], v[64:65], v[42:43]
	v_fma_f64 v[138:139], v[66:67], v[40:41], v[64:65]
	global_load_dwordx4 v[240:243], v[140:141], off offset:2928
	global_load_dwordx4 v[64:67], v[140:141], off offset:2912
	s_waitcnt vmcnt(0) lgkmcnt(1)
	v_mul_f64 v[140:141], v[106:107], v[66:67]
	v_fma_f64 v[140:141], v[104:105], v[64:65], -v[140:141]
	v_mul_f64 v[104:105], v[104:105], v[66:67]
	v_fma_f64 v[104:105], v[106:107], v[64:65], v[104:105]
	s_waitcnt lgkmcnt(0)
	v_mul_f64 v[106:107], v[30:31], v[242:243]
	v_fma_f64 v[106:107], v[28:29], v[240:241], -v[106:107]
	v_mul_f64 v[28:29], v[28:29], v[242:243]
	v_fma_f64 v[28:29], v[30:31], v[240:241], v[28:29]
	v_subrev_u32_e32 v30, 54, v187
	v_cndmask_b32_e64 v30, v30, v150, s[2:3]
	v_mul_hi_i32_i24_e32 v31, 0x60, v30
	v_mul_i32_i24_e32 v30, 0x60, v30
	v_add_co_u32_e32 v157, vcc, s14, v30
	v_mov_b32_e32 v30, s15
	v_addc_co_u32_e32 v158, vcc, v30, v31, vcc
	global_load_dwordx4 v[159:162], v[157:158], off offset:2896
	global_load_dwordx4 v[163:166], v[157:158], off offset:2880
	;; [unrolled: 1-line block ×4, first 2 shown]
	s_mov_b32 s14, 0xe976ee23
	s_mov_b32 s15, 0xbfe11646
	s_waitcnt vmcnt(0)
	v_mul_f64 v[30:31], v[74:75], v[173:174]
	v_fma_f64 v[152:153], v[72:73], v[171:172], -v[30:31]
	v_mul_f64 v[30:31], v[72:73], v[173:174]
	buffer_store_dword v171, off, s[36:39], 0 offset:956 ; 4-byte Folded Spill
	s_nop 0
	buffer_store_dword v172, off, s[36:39], 0 offset:960 ; 4-byte Folded Spill
	buffer_store_dword v173, off, s[36:39], 0 offset:964 ; 4-byte Folded Spill
	;; [unrolled: 1-line block ×3, first 2 shown]
	v_mul_f64 v[72:73], v[96:97], v[165:166]
	v_fma_f64 v[154:155], v[74:75], v[171:172], v[30:31]
	v_mul_f64 v[30:31], v[86:87], v[169:170]
	v_mul_f64 v[74:75], v[102:103], v[161:162]
	v_fma_f64 v[150:151], v[84:85], v[167:168], -v[30:31]
	v_mul_f64 v[30:31], v[84:85], v[169:170]
	buffer_store_dword v167, off, s[36:39], 0 offset:940 ; 4-byte Folded Spill
	s_nop 0
	buffer_store_dword v168, off, s[36:39], 0 offset:944 ; 4-byte Folded Spill
	buffer_store_dword v169, off, s[36:39], 0 offset:948 ; 4-byte Folded Spill
	;; [unrolled: 1-line block ×3, first 2 shown]
	v_fma_f64 v[74:75], v[100:101], v[159:160], -v[74:75]
	v_mul_f64 v[84:85], v[100:101], v[161:162]
	v_fma_f64 v[86:87], v[86:87], v[167:168], v[30:31]
	v_mul_f64 v[30:31], v[98:99], v[165:166]
	v_fma_f64 v[30:31], v[96:97], v[163:164], -v[30:31]
	buffer_store_dword v163, off, s[36:39], 0 offset:924 ; 4-byte Folded Spill
	s_nop 0
	buffer_store_dword v164, off, s[36:39], 0 offset:928 ; 4-byte Folded Spill
	buffer_store_dword v165, off, s[36:39], 0 offset:932 ; 4-byte Folded Spill
	;; [unrolled: 1-line block ×4, first 2 shown]
	s_nop 0
	buffer_store_dword v160, off, s[36:39], 0 offset:912 ; 4-byte Folded Spill
	buffer_store_dword v161, off, s[36:39], 0 offset:916 ; 4-byte Folded Spill
	;; [unrolled: 1-line block ×3, first 2 shown]
	v_fma_f64 v[72:73], v[98:99], v[163:164], v[72:73]
	v_fma_f64 v[84:85], v[102:103], v[159:160], v[84:85]
	global_load_dwordx4 v[98:101], v[157:158], off offset:2928
	s_nop 0
	global_load_dwordx4 v[157:160], v[157:158], off offset:2912
	v_add_f64 v[102:103], v[132:133], -v[148:149]
	s_waitcnt vmcnt(0)
	v_mul_f64 v[96:97], v[18:19], v[159:160]
	v_fma_f64 v[96:97], v[16:17], v[157:158], -v[96:97]
	v_mul_f64 v[16:17], v[16:17], v[159:160]
	buffer_store_dword v157, off, s[36:39], 0 offset:988 ; 4-byte Folded Spill
	s_nop 0
	buffer_store_dword v158, off, s[36:39], 0 offset:992 ; 4-byte Folded Spill
	buffer_store_dword v159, off, s[36:39], 0 offset:996 ; 4-byte Folded Spill
	;; [unrolled: 1-line block ×3, first 2 shown]
	v_fma_f64 v[18:19], v[18:19], v[157:158], v[16:17]
	v_mul_f64 v[16:17], v[78:79], v[100:101]
	v_fma_f64 v[16:17], v[76:77], v[98:99], -v[16:17]
	v_mul_f64 v[76:77], v[76:77], v[100:101]
	buffer_store_dword v98, off, s[36:39], 0 offset:972 ; 4-byte Folded Spill
	s_nop 0
	buffer_store_dword v99, off, s[36:39], 0 offset:976 ; 4-byte Folded Spill
	buffer_store_dword v100, off, s[36:39], 0 offset:980 ; 4-byte Folded Spill
	;; [unrolled: 1-line block ×3, first 2 shown]
	v_add_f64 v[100:101], v[142:143], -v[118:119]
	v_fma_f64 v[76:77], v[78:79], v[98:99], v[76:77]
	v_add_f64 v[78:79], v[142:143], v[118:119]
	v_add_f64 v[98:99], v[132:133], v[148:149]
	v_add_f64 v[118:119], v[144:145], v[114:115]
	v_add_f64 v[132:133], v[134:135], v[116:117]
	v_add_f64 v[114:115], v[144:145], -v[114:115]
	v_add_f64 v[116:117], v[134:135], -v[116:117]
	v_add_f64 v[134:135], v[146:147], v[110:111]
	v_add_f64 v[142:143], v[108:109], v[112:113]
	v_add_f64 v[110:111], v[110:111], -v[146:147]
	v_add_f64 v[108:109], v[112:113], -v[108:109]
	v_add_f64 v[112:113], v[118:119], v[78:79]
	v_add_f64 v[144:145], v[132:133], v[98:99]
	v_add_f64 v[146:147], v[118:119], -v[78:79]
	v_add_f64 v[148:149], v[132:133], -v[98:99]
	;; [unrolled: 1-line block ×6, first 2 shown]
	v_add_f64 v[132:133], v[110:111], v[114:115]
	v_add_f64 v[159:160], v[108:109], v[116:117]
	v_add_f64 v[161:162], v[110:111], -v[114:115]
	v_add_f64 v[163:164], v[108:109], -v[116:117]
	;; [unrolled: 1-line block ×4, first 2 shown]
	v_add_f64 v[112:113], v[134:135], v[112:113]
	v_add_f64 v[142:143], v[142:143], v[144:145]
	v_add_f64 v[110:111], v[100:101], -v[110:111]
	v_add_f64 v[108:109], v[102:103], -v[108:109]
	v_add_f64 v[100:101], v[132:133], v[100:101]
	v_add_f64 v[102:103], v[159:160], v[102:103]
	v_mul_f64 v[144:145], v[161:162], s[14:15]
	v_mul_f64 v[159:160], v[163:164], s[14:15]
	v_add_f64 v[132:133], v[24:25], v[112:113]
	v_add_f64 v[134:135], v[26:27], v[142:143]
	v_mul_f64 v[24:25], v[78:79], s[24:25]
	v_mul_f64 v[26:27], v[98:99], s[24:25]
	;; [unrolled: 1-line block ×6, first 2 shown]
	v_fma_f64 v[112:113], v[112:113], s[26:27], v[132:133]
	v_fma_f64 v[142:143], v[142:143], s[26:27], v[134:135]
	;; [unrolled: 1-line block ×4, first 2 shown]
	v_fma_f64 v[78:79], v[146:147], s[16:17], -v[78:79]
	v_fma_f64 v[98:99], v[148:149], s[16:17], -v[98:99]
	;; [unrolled: 1-line block ×4, first 2 shown]
	v_fma_f64 v[146:147], v[110:111], s[28:29], v[144:145]
	v_fma_f64 v[148:149], v[108:109], s[28:29], v[159:160]
	v_fma_f64 v[114:115], v[114:115], s[6:7], -v[144:145]
	v_fma_f64 v[116:117], v[116:117], s[6:7], -v[159:160]
	;; [unrolled: 1-line block ×4, first 2 shown]
	v_add_f64 v[118:119], v[118:119], v[112:113]
	v_add_f64 v[78:79], v[78:79], v[112:113]
	;; [unrolled: 1-line block ×5, first 2 shown]
	v_fma_f64 v[112:113], v[100:101], s[22:23], v[146:147]
	v_fma_f64 v[169:170], v[102:103], s[22:23], v[148:149]
	;; [unrolled: 1-line block ×6, first 2 shown]
	v_add_f64 v[171:172], v[157:158], v[142:143]
	v_add_f64 v[108:109], v[120:121], v[138:139]
	v_add_f64 v[110:111], v[122:123], -v[124:125]
	v_add_f64 v[142:143], v[169:170], v[118:119]
	v_add_f64 v[159:160], v[114:115], v[98:99]
	v_add_f64 v[163:164], v[98:99], -v[114:115]
	v_add_f64 v[148:149], v[26:27], -v[100:101]
	v_add_f64 v[146:147], v[102:103], v[24:25]
	v_add_f64 v[165:166], v[24:25], -v[102:103]
	v_add_f64 v[167:168], v[100:101], v[26:27]
	v_add_f64 v[24:25], v[136:137], v[106:107]
	;; [unrolled: 1-line block ×5, first 2 shown]
	v_add_f64 v[144:145], v[171:172], -v[112:113]
	v_add_f64 v[157:158], v[78:79], -v[116:117]
	v_add_f64 v[161:162], v[116:117], v[78:79]
	v_add_f64 v[171:172], v[112:113], v[171:172]
	v_add_f64 v[78:79], v[136:137], -v[106:107]
	v_add_f64 v[28:29], v[130:131], -v[28:29]
	v_add_f64 v[102:103], v[128:129], -v[140:141]
	v_add_f64 v[104:105], v[126:127], -v[104:105]
	v_add_f64 v[106:107], v[124:125], v[122:123]
	v_add_f64 v[112:113], v[138:139], -v[120:121]
	v_add_f64 v[114:115], v[98:99], v[24:25]
	v_add_f64 v[116:117], v[100:101], v[26:27]
	v_add_f64 v[169:170], v[118:119], -v[169:170]
	v_add_f64 v[118:119], v[98:99], -v[24:25]
	;; [unrolled: 1-line block ×7, first 2 shown]
	v_add_f64 v[120:121], v[110:111], v[102:103]
	v_add_f64 v[122:123], v[112:113], v[104:105]
	v_add_f64 v[126:127], v[110:111], -v[102:103]
	v_add_f64 v[128:129], v[112:113], -v[104:105]
	;; [unrolled: 1-line block ×3, first 2 shown]
	v_add_f64 v[106:107], v[106:107], v[114:115]
	v_add_f64 v[108:109], v[108:109], v[116:117]
	v_add_f64 v[110:111], v[78:79], -v[110:111]
	v_add_f64 v[112:113], v[28:29], -v[112:113]
	;; [unrolled: 1-line block ×3, first 2 shown]
	v_add_f64 v[78:79], v[120:121], v[78:79]
	v_add_f64 v[28:29], v[122:123], v[28:29]
	v_mul_f64 v[114:115], v[126:127], s[14:15]
	v_add_f64 v[120:121], v[12:13], v[106:107]
	v_add_f64 v[122:123], v[14:15], v[108:109]
	v_mul_f64 v[12:13], v[24:25], s[24:25]
	v_mul_f64 v[14:15], v[26:27], s[24:25]
	;; [unrolled: 1-line block ×7, first 2 shown]
	v_fma_f64 v[106:107], v[106:107], s[26:27], v[120:121]
	v_fma_f64 v[108:109], v[108:109], s[26:27], v[122:123]
	;; [unrolled: 1-line block ×4, first 2 shown]
	v_fma_f64 v[24:25], v[118:119], s[16:17], -v[24:25]
	v_fma_f64 v[26:27], v[124:125], s[16:17], -v[26:27]
	;; [unrolled: 1-line block ×4, first 2 shown]
	v_fma_f64 v[124:125], v[112:113], s[28:29], v[116:117]
	v_fma_f64 v[102:103], v[102:103], s[6:7], -v[114:115]
	v_fma_f64 v[104:105], v[104:105], s[6:7], -v[116:117]
	;; [unrolled: 1-line block ×3, first 2 shown]
	v_fma_f64 v[118:119], v[110:111], s[28:29], v[114:115]
	v_fma_f64 v[110:111], v[110:111], s[30:31], -v[126:127]
	v_add_f64 v[100:101], v[100:101], v[108:109]
	v_add_f64 v[24:25], v[24:25], v[106:107]
	;; [unrolled: 1-line block ×5, first 2 shown]
	v_fma_f64 v[108:109], v[28:29], s[22:23], v[124:125]
	v_fma_f64 v[102:103], v[78:79], s[22:23], v[102:103]
	;; [unrolled: 1-line block ×4, first 2 shown]
	v_add_f64 v[98:99], v[98:99], v[106:107]
	v_fma_f64 v[106:107], v[78:79], s[22:23], v[118:119]
	v_fma_f64 v[78:79], v[78:79], s[22:23], v[110:111]
	v_add_f64 v[138:139], v[102:103], v[26:27]
	v_add_f64 v[136:137], v[24:25], -v[104:105]
	v_add_f64 v[128:129], v[28:29], v[12:13]
	v_add_f64 v[173:174], v[104:105], v[24:25]
	v_add_f64 v[175:176], v[26:27], -v[102:103]
	v_add_f64 v[177:178], v[12:13], -v[28:29]
	v_add_f64 v[12:13], v[152:153], v[16:17]
	v_add_f64 v[24:25], v[154:155], v[76:77]
	v_add_f64 v[26:27], v[152:153], -v[16:17]
	v_add_f64 v[16:17], v[150:151], v[96:97]
	v_add_f64 v[28:29], v[86:87], v[18:19]
	;; [unrolled: 1-line block ×3, first 2 shown]
	v_add_f64 v[126:127], v[100:101], -v[106:107]
	v_add_f64 v[130:131], v[14:15], -v[78:79]
	v_add_f64 v[179:180], v[78:79], v[14:15]
	v_add_f64 v[181:182], v[98:99], -v[108:109]
	v_add_f64 v[183:184], v[106:107], v[100:101]
	v_add_f64 v[14:15], v[154:155], -v[76:77]
	v_add_f64 v[18:19], v[86:87], -v[18:19]
	v_add_f64 v[76:77], v[30:31], v[74:75]
	v_add_f64 v[78:79], v[72:73], v[84:85]
	v_add_f64 v[86:87], v[74:75], -v[30:31]
	v_add_f64 v[98:99], v[84:85], -v[72:73]
	v_add_f64 v[100:101], v[16:17], v[12:13]
	v_add_f64 v[102:103], v[28:29], v[24:25]
	v_add_f64 v[96:97], v[150:151], -v[96:97]
	ds_write_b128 v156, v[132:135]
	ds_write_b128 v156, v[142:145] offset:2880
	ds_write_b128 v156, v[146:149] offset:5760
	;; [unrolled: 1-line block ×13, first 2 shown]
	v_add_f64 v[104:105], v[12:13], -v[76:77]
	v_add_f64 v[106:107], v[24:25], -v[78:79]
	;; [unrolled: 1-line block ×4, first 2 shown]
	v_add_f64 v[110:111], v[98:99], v[18:19]
	v_add_f64 v[30:31], v[98:99], -v[18:19]
	v_add_f64 v[112:113], v[26:27], -v[86:87]
	;; [unrolled: 1-line block ×3, first 2 shown]
	v_add_f64 v[76:77], v[76:77], v[100:101]
	v_add_f64 v[78:79], v[78:79], v[102:103]
	;; [unrolled: 1-line block ×3, first 2 shown]
	v_add_f64 v[84:85], v[86:87], -v[96:97]
	v_add_f64 v[86:87], v[110:111], v[14:15]
	v_mul_f64 v[104:105], v[104:105], s[24:25]
	v_mul_f64 v[116:117], v[106:107], s[24:25]
	;; [unrolled: 1-line block ×3, first 2 shown]
	v_add_f64 v[8:9], v[8:9], v[76:77]
	v_add_f64 v[10:11], v[10:11], v[78:79]
	v_mul_f64 v[110:111], v[98:99], s[28:29]
	v_add_f64 v[114:115], v[108:109], v[26:27]
	v_fma_f64 v[106:107], v[84:85], s[14:15], v[118:119]
	v_fma_f64 v[100:101], v[76:77], s[26:27], v[8:9]
	;; [unrolled: 1-line block ×7, first 2 shown]
	v_add_f64 v[98:99], v[76:77], v[100:101]
	v_add_f64 v[102:103], v[78:79], v[112:113]
	v_fma_f64 v[108:109], v[86:87], s[22:23], v[108:109]
	v_add_f64 v[78:79], v[106:107], v[102:103]
	v_add_f64 v[76:77], v[98:99], -v[108:109]
	s_and_saveexec_b64 s[24:25], s[2:3]
	s_cbranch_execz .LBB0_13
; %bb.12:
	v_add_f64 v[26:27], v[96:97], -v[26:27]
	v_add_f64 v[24:25], v[28:29], -v[24:25]
	v_mul_f64 v[84:85], v[84:85], s[14:15]
	v_add_f64 v[12:13], v[16:17], -v[12:13]
	v_add_f64 v[14:15], v[18:19], -v[14:15]
	v_mul_f64 v[28:29], v[72:73], s[18:19]
	v_mul_f64 v[72:73], v[74:75], s[18:19]
	;; [unrolled: 1-line block ×3, first 2 shown]
	s_mov_b32 s19, 0xbfebfeb5
	s_mov_b32 s18, s6
	v_mul_f64 v[74:75], v[114:115], s[22:23]
	v_fma_f64 v[96:97], v[26:27], s[18:19], -v[118:119]
	v_fma_f64 v[114:115], v[24:25], s[20:21], -v[116:117]
	v_mul_f64 v[16:17], v[86:87], s[22:23]
	v_fma_f64 v[26:27], v[26:27], s[6:7], -v[84:85]
	v_fma_f64 v[84:85], v[12:13], s[20:21], -v[104:105]
	;; [unrolled: 1-line block ×6, first 2 shown]
	v_add_f64 v[30:31], v[74:75], v[96:97]
	v_add_f64 v[72:73], v[114:115], v[112:113]
	v_add_f64 v[26:27], v[74:75], v[26:27]
	v_add_f64 v[84:85], v[84:85], v[100:101]
	v_add_f64 v[86:87], v[16:17], v[86:87]
	v_add_f64 v[24:25], v[24:25], v[112:113]
	v_add_f64 v[12:13], v[12:13], v[100:101]
	v_add_f64 v[16:17], v[16:17], v[14:15]
	v_add_f64 v[74:75], v[102:103], -v[106:107]
	v_add_f64 v[14:15], v[30:31], v[72:73]
	v_add_f64 v[30:31], v[72:73], -v[30:31]
	v_add_f64 v[72:73], v[108:109], v[98:99]
	v_add_f64 v[28:29], v[86:87], v[84:85]
	v_add_f64 v[18:19], v[24:25], -v[26:27]
	v_add_f64 v[26:27], v[26:27], v[24:25]
	v_add_f64 v[24:25], v[12:13], -v[16:17]
	;; [unrolled: 2-line block ×3, first 2 shown]
	ds_write_b128 v156, v[8:11] offset:2016
	ds_write_b128 v156, v[72:75] offset:4896
	;; [unrolled: 1-line block ×7, first 2 shown]
.LBB0_13:
	s_or_b64 exec, exec, s[24:25]
	v_lshlrev_b32_e32 v8, 4, v187
	v_add_co_u32_e32 v10, vcc, s12, v8
	v_mov_b32_e32 v8, s13
	v_addc_co_u32_e32 v11, vcc, 0, v8, vcc
	s_movk_i32 s6, 0x4ec0
	v_add_co_u32_e32 v28, vcc, s6, v10
	v_addc_co_u32_e32 v29, vcc, 0, v11, vcc
	s_movk_i32 s6, 0x4000
	v_add_co_u32_e32 v8, vcc, s6, v10
	v_addc_co_u32_e32 v9, vcc, 0, v11, vcc
	s_waitcnt lgkmcnt(0)
	; wave barrier
	s_waitcnt lgkmcnt(0)
	global_load_dwordx4 v[16:19], v[8:9], off offset:3776
	ds_read_b128 v[12:15], v156
	s_movk_i32 s6, 0x7000
	s_waitcnt vmcnt(0) lgkmcnt(0)
	v_mul_f64 v[8:9], v[14:15], v[18:19]
	v_fma_f64 v[24:25], v[12:13], v[16:17], -v[8:9]
	v_mul_f64 v[8:9], v[12:13], v[18:19]
	v_fma_f64 v[26:27], v[14:15], v[16:17], v[8:9]
	v_add_co_u32_e32 v8, vcc, s6, v10
	v_addc_co_u32_e32 v9, vcc, 0, v11, vcc
	global_load_dwordx4 v[16:19], v[8:9], off offset:1568
	ds_read_b128 v[12:15], v156 offset:10080
	s_mov_b32 s6, 0x8000
	ds_write_b128 v156, v[24:27]
	v_add_co_u32_e32 v30, vcc, s6, v10
	v_addc_co_u32_e32 v31, vcc, 0, v11, vcc
	s_movk_i32 s6, 0x6000
	s_waitcnt vmcnt(0) lgkmcnt(1)
	v_mul_f64 v[24:25], v[14:15], v[18:19]
	v_fma_f64 v[24:25], v[12:13], v[16:17], -v[24:25]
	v_mul_f64 v[12:13], v[12:13], v[18:19]
	v_fma_f64 v[26:27], v[14:15], v[16:17], v[12:13]
	global_load_dwordx4 v[16:19], v[28:29], off offset:1008
	ds_read_b128 v[12:15], v156 offset:1008
	ds_write_b128 v156, v[24:27] offset:10080
	s_waitcnt vmcnt(0) lgkmcnt(1)
	v_mul_f64 v[24:25], v[14:15], v[18:19]
	v_fma_f64 v[24:25], v[12:13], v[16:17], -v[24:25]
	v_mul_f64 v[12:13], v[12:13], v[18:19]
	v_fma_f64 v[26:27], v[14:15], v[16:17], v[12:13]
	global_load_dwordx4 v[16:19], v[8:9], off offset:2576
	ds_read_b128 v[12:15], v156 offset:11088
	ds_write_b128 v156, v[24:27] offset:1008
	;; [unrolled: 8-line block ×6, first 2 shown]
	s_waitcnt vmcnt(0) lgkmcnt(1)
	v_mul_f64 v[24:25], v[14:15], v[18:19]
	v_fma_f64 v[24:25], v[12:13], v[16:17], -v[24:25]
	v_mul_f64 v[12:13], v[12:13], v[18:19]
	v_fma_f64 v[26:27], v[14:15], v[16:17], v[12:13]
	global_load_dwordx4 v[16:19], v[28:29], off offset:4032
	ds_read_b128 v[12:15], v156 offset:4032
	v_add_co_u32_e32 v28, vcc, s6, v10
	v_addc_co_u32_e32 v29, vcc, 0, v11, vcc
	s_mov_b32 s6, 0x9000
	ds_write_b128 v156, v[24:27] offset:13104
	s_waitcnt vmcnt(0) lgkmcnt(1)
	v_mul_f64 v[24:25], v[14:15], v[18:19]
	v_fma_f64 v[24:25], v[12:13], v[16:17], -v[24:25]
	v_mul_f64 v[12:13], v[12:13], v[18:19]
	v_fma_f64 v[26:27], v[14:15], v[16:17], v[12:13]
	global_load_dwordx4 v[16:19], v[30:31], off offset:1504
	ds_read_b128 v[12:15], v156 offset:14112
	ds_write_b128 v156, v[24:27] offset:4032
	s_waitcnt vmcnt(0) lgkmcnt(1)
	v_mul_f64 v[24:25], v[14:15], v[18:19]
	v_fma_f64 v[24:25], v[12:13], v[16:17], -v[24:25]
	v_mul_f64 v[12:13], v[12:13], v[18:19]
	v_fma_f64 v[26:27], v[14:15], v[16:17], v[12:13]
	global_load_dwordx4 v[16:19], v[28:29], off offset:624
	ds_read_b128 v[12:15], v156 offset:5040
	;; [unrolled: 8-line block ×5, first 2 shown]
	v_add_co_u32_e32 v30, vcc, s6, v10
	v_addc_co_u32_e32 v31, vcc, 0, v11, vcc
	ds_write_b128 v156, v[24:27] offset:6048
	s_waitcnt vmcnt(0) lgkmcnt(1)
	v_mul_f64 v[24:25], v[14:15], v[18:19]
	v_fma_f64 v[24:25], v[12:13], v[16:17], -v[24:25]
	v_mul_f64 v[12:13], v[12:13], v[18:19]
	v_fma_f64 v[26:27], v[14:15], v[16:17], v[12:13]
	global_load_dwordx4 v[16:19], v[28:29], off offset:2640
	ds_read_b128 v[12:15], v156 offset:7056
	ds_write_b128 v156, v[24:27] offset:16128
	s_waitcnt vmcnt(0) lgkmcnt(1)
	v_mul_f64 v[24:25], v[14:15], v[18:19]
	v_fma_f64 v[24:25], v[12:13], v[16:17], -v[24:25]
	v_mul_f64 v[12:13], v[12:13], v[18:19]
	v_fma_f64 v[26:27], v[14:15], v[16:17], v[12:13]
	global_load_dwordx4 v[16:19], v[30:31], off offset:432
	ds_read_b128 v[12:15], v156 offset:17136
	ds_write_b128 v156, v[24:27] offset:7056
	s_waitcnt vmcnt(0) lgkmcnt(1)
	v_mul_f64 v[10:11], v[14:15], v[18:19]
	v_fma_f64 v[10:11], v[12:13], v[16:17], -v[10:11]
	v_mul_f64 v[12:13], v[12:13], v[18:19]
	v_fma_f64 v[12:13], v[14:15], v[16:17], v[12:13]
	global_load_dwordx4 v[14:17], v[28:29], off offset:3648
	ds_write_b128 v156, v[10:13] offset:17136
	ds_read_b128 v[10:13], v156 offset:8064
	s_waitcnt vmcnt(0) lgkmcnt(0)
	v_mul_f64 v[18:19], v[12:13], v[16:17]
	v_fma_f64 v[24:25], v[10:11], v[14:15], -v[18:19]
	v_mul_f64 v[10:11], v[10:11], v[16:17]
	v_fma_f64 v[26:27], v[12:13], v[14:15], v[10:11]
	global_load_dwordx4 v[14:17], v[30:31], off offset:1440
	ds_read_b128 v[10:13], v156 offset:18144
	ds_write_b128 v156, v[24:27] offset:8064
	s_waitcnt vmcnt(0) lgkmcnt(1)
	v_mul_f64 v[18:19], v[12:13], v[16:17]
	v_fma_f64 v[24:25], v[10:11], v[14:15], -v[18:19]
	v_mul_f64 v[10:11], v[10:11], v[16:17]
	v_fma_f64 v[26:27], v[12:13], v[14:15], v[10:11]
	global_load_dwordx4 v[14:17], v[8:9], off offset:560
	ds_read_b128 v[10:13], v156 offset:9072
	ds_write_b128 v156, v[24:27] offset:18144
	s_waitcnt vmcnt(0) lgkmcnt(1)
	v_mul_f64 v[8:9], v[12:13], v[16:17]
	v_fma_f64 v[8:9], v[10:11], v[14:15], -v[8:9]
	v_mul_f64 v[10:11], v[10:11], v[16:17]
	v_fma_f64 v[10:11], v[12:13], v[14:15], v[10:11]
	global_load_dwordx4 v[12:15], v[30:31], off offset:2448
	ds_write_b128 v156, v[8:11] offset:9072
	ds_read_b128 v[8:11], v156 offset:19152
	s_waitcnt vmcnt(0) lgkmcnt(0)
	v_mul_f64 v[16:17], v[10:11], v[14:15]
	v_fma_f64 v[16:17], v[8:9], v[12:13], -v[16:17]
	v_mul_f64 v[8:9], v[8:9], v[14:15]
	v_fma_f64 v[18:19], v[10:11], v[12:13], v[8:9]
	ds_write_b128 v156, v[16:19] offset:19152
	s_waitcnt lgkmcnt(0)
	; wave barrier
	s_waitcnt lgkmcnt(0)
	ds_read_b128 v[8:11], v156
	ds_read_b128 v[12:15], v156 offset:10080
	ds_read_b128 v[16:19], v156 offset:1008
	;; [unrolled: 1-line block ×19, first 2 shown]
	s_waitcnt lgkmcnt(14)
	v_add_f64 v[12:13], v[8:9], -v[12:13]
	v_add_f64 v[14:15], v[10:11], -v[14:15]
	;; [unrolled: 1-line block ×4, first 2 shown]
	s_waitcnt lgkmcnt(0)
	; wave barrier
	s_waitcnt lgkmcnt(0)
	v_add_f64 v[72:73], v[28:29], -v[72:73]
	v_add_f64 v[74:75], v[30:31], -v[74:75]
	v_fma_f64 v[8:9], v[8:9], 2.0, -v[12:13]
	v_fma_f64 v[10:11], v[10:11], 2.0, -v[14:15]
	;; [unrolled: 1-line block ×4, first 2 shown]
	ds_write_b128 v185, v[8:11]
	ds_write_b128 v185, v[12:15] offset:16
	ds_write_b128 v186, v[16:19]
	ds_write_b128 v186, v[24:27] offset:16
	buffer_load_dword v8, off, s[36:39], 0 offset:416 ; 4-byte Folded Reload
	v_fma_f64 v[28:29], v[28:29], 2.0, -v[72:73]
	v_fma_f64 v[30:31], v[30:31], 2.0, -v[74:75]
	v_add_f64 v[96:97], v[84:85], -v[96:97]
	v_add_f64 v[98:99], v[86:87], -v[98:99]
	;; [unrolled: 1-line block ×8, first 2 shown]
	v_fma_f64 v[84:85], v[84:85], 2.0, -v[96:97]
	v_fma_f64 v[86:87], v[86:87], 2.0, -v[98:99]
	;; [unrolled: 1-line block ×8, first 2 shown]
	v_add_f64 v[128:129], v[124:125], -v[128:129]
	v_add_f64 v[130:131], v[126:127], -v[130:131]
	;; [unrolled: 1-line block ×5, first 2 shown]
	s_waitcnt vmcnt(0)
	ds_write_b128 v8, v[28:31]
	ds_write_b128 v8, v[72:75] offset:16
	buffer_load_dword v8, off, s[36:39], 0 offset:424 ; 4-byte Folded Reload
	v_fma_f64 v[124:125], v[124:125], 2.0, -v[128:129]
	v_fma_f64 v[126:127], v[126:127], 2.0, -v[130:131]
	v_fma_f64 v[132:133], v[132:133], 2.0, -v[136:137]
	v_fma_f64 v[134:135], v[134:135], 2.0, -v[138:139]
	v_add_f64 v[146:147], v[142:143], -v[146:147]
	v_fma_f64 v[140:141], v[140:141], 2.0, -v[144:145]
	s_waitcnt vmcnt(0)
	ds_write_b128 v8, v[84:87]
	ds_write_b128 v8, v[96:99] offset:16
	buffer_load_dword v8, off, s[36:39], 0 offset:432 ; 4-byte Folded Reload
	v_fma_f64 v[142:143], v[142:143], 2.0, -v[146:147]
	s_waitcnt vmcnt(0)
	ds_write_b128 v8, v[100:103]
	ds_write_b128 v8, v[104:107] offset:16
	buffer_load_dword v8, off, s[36:39], 0 offset:440 ; 4-byte Folded Reload
	s_waitcnt vmcnt(0)
	ds_write_b128 v8, v[108:111]
	ds_write_b128 v8, v[112:115] offset:16
	buffer_load_dword v8, off, s[36:39], 0 offset:448 ; 4-byte Folded Reload
	;; [unrolled: 4-line block ×5, first 2 shown]
	s_waitcnt vmcnt(0)
	ds_write_b128 v8, v[140:143]
	ds_write_b128 v8, v[144:147] offset:16
	s_waitcnt lgkmcnt(0)
	; wave barrier
	s_waitcnt lgkmcnt(0)
	ds_read_b128 v[8:11], v156
	ds_read_b128 v[12:15], v156 offset:10080
	ds_read_b128 v[16:19], v156 offset:1008
	;; [unrolled: 1-line block ×19, first 2 shown]
	buffer_load_dword v183, off, s[36:39], 0 offset:328 ; 4-byte Folded Reload
	buffer_load_dword v184, off, s[36:39], 0 offset:332 ; 4-byte Folded Reload
	;; [unrolled: 1-line block ×6, first 2 shown]
	s_waitcnt lgkmcnt(14)
	v_mul_f64 v[148:149], v[90:91], v[14:15]
	v_fma_f64 v[148:149], v[88:89], v[12:13], v[148:149]
	v_mul_f64 v[12:13], v[90:91], v[12:13]
	v_fma_f64 v[12:13], v[88:89], v[14:15], -v[12:13]
	s_waitcnt vmcnt(2)
	v_mul_f64 v[14:15], v[185:186], v[26:27]
	s_waitcnt vmcnt(0)
	v_fma_f64 v[14:15], v[150:151], v[24:25], v[14:15]
	v_mul_f64 v[24:25], v[185:186], v[24:25]
	v_fma_f64 v[150:151], v[150:151], v[26:27], -v[24:25]
	v_mul_f64 v[24:25], v[90:91], v[74:75]
	v_fma_f64 v[152:153], v[88:89], v[72:73], v[24:25]
	v_mul_f64 v[24:25], v[90:91], v[72:73]
	v_fma_f64 v[154:155], v[88:89], v[74:75], -v[24:25]
	buffer_load_dword v72, off, s[36:39], 0 offset:464 ; 4-byte Folded Reload
	buffer_load_dword v73, off, s[36:39], 0 offset:468 ; 4-byte Folded Reload
	;; [unrolled: 1-line block ×4, first 2 shown]
	s_waitcnt vmcnt(0) lgkmcnt(12)
	v_mul_f64 v[24:25], v[74:75], v[98:99]
	v_fma_f64 v[157:158], v[72:73], v[96:97], v[24:25]
	v_mul_f64 v[24:25], v[74:75], v[96:97]
	v_add_f64 v[96:97], v[28:29], -v[152:153]
	v_fma_f64 v[159:160], v[72:73], v[98:99], -v[24:25]
	buffer_load_dword v72, off, s[36:39], 0 offset:480 ; 4-byte Folded Reload
	buffer_load_dword v73, off, s[36:39], 0 offset:484 ; 4-byte Folded Reload
	;; [unrolled: 1-line block ×4, first 2 shown]
	s_waitcnt lgkmcnt(10)
	v_mul_f64 v[24:25], v[90:91], v[106:107]
	v_add_f64 v[98:99], v[30:31], -v[154:155]
	v_fma_f64 v[28:29], v[28:29], 2.0, -v[96:97]
	v_fma_f64 v[161:162], v[88:89], v[104:105], v[24:25]
	v_mul_f64 v[24:25], v[90:91], v[104:105]
	v_fma_f64 v[30:31], v[30:31], 2.0, -v[98:99]
	v_add_f64 v[104:105], v[84:85], -v[157:158]
	v_fma_f64 v[163:164], v[88:89], v[106:107], -v[24:25]
	v_add_f64 v[106:107], v[86:87], -v[159:160]
	v_fma_f64 v[84:85], v[84:85], 2.0, -v[104:105]
	v_fma_f64 v[86:87], v[86:87], 2.0, -v[106:107]
	s_waitcnt vmcnt(0) lgkmcnt(8)
	v_mul_f64 v[24:25], v[74:75], v[114:115]
	v_fma_f64 v[165:166], v[72:73], v[112:113], v[24:25]
	v_mul_f64 v[24:25], v[74:75], v[112:113]
	v_add_f64 v[112:113], v[100:101], -v[161:162]
	v_fma_f64 v[167:168], v[72:73], v[114:115], -v[24:25]
	buffer_load_dword v72, off, s[36:39], 0 offset:400 ; 4-byte Folded Reload
	buffer_load_dword v73, off, s[36:39], 0 offset:404 ; 4-byte Folded Reload
	buffer_load_dword v74, off, s[36:39], 0 offset:408 ; 4-byte Folded Reload
	buffer_load_dword v75, off, s[36:39], 0 offset:412 ; 4-byte Folded Reload
	buffer_load_dword v26, off, s[36:39], 0 offset:392 ; 4-byte Folded Reload
	buffer_load_dword v27, off, s[36:39], 0 offset:396 ; 4-byte Folded Reload
	s_waitcnt lgkmcnt(6)
	v_mul_f64 v[24:25], v[90:91], v[122:123]
	s_waitcnt lgkmcnt(0)
	; wave barrier
	s_waitcnt lgkmcnt(0)
	v_add_f64 v[114:115], v[102:103], -v[163:164]
	v_fma_f64 v[169:170], v[88:89], v[120:121], v[24:25]
	v_mul_f64 v[24:25], v[90:91], v[120:121]
	v_fma_f64 v[120:121], v[100:101], 2.0, -v[112:113]
	v_fma_f64 v[171:172], v[88:89], v[122:123], -v[24:25]
	v_fma_f64 v[122:123], v[102:103], 2.0, -v[114:115]
	s_waitcnt vmcnt(2)
	v_mul_f64 v[24:25], v[74:75], v[130:131]
	v_fma_f64 v[173:174], v[72:73], v[128:129], v[24:25]
	v_mul_f64 v[24:25], v[74:75], v[128:129]
	v_add_f64 v[128:129], v[108:109], -v[165:166]
	v_fma_f64 v[175:176], v[72:73], v[130:131], -v[24:25]
	v_mul_f64 v[24:25], v[90:91], v[138:139]
	v_add_f64 v[130:131], v[110:111], -v[167:168]
	v_fma_f64 v[108:109], v[108:109], 2.0, -v[128:129]
	v_fma_f64 v[177:178], v[88:89], v[136:137], v[24:25]
	v_mul_f64 v[24:25], v[90:91], v[136:137]
	v_add_f64 v[90:91], v[18:19], -v[150:151]
	v_fma_f64 v[110:111], v[110:111], 2.0, -v[130:131]
	v_add_f64 v[136:137], v[116:117], -v[169:170]
	v_fma_f64 v[179:180], v[88:89], v[138:139], -v[24:25]
	s_waitcnt vmcnt(0)
	v_mul_f64 v[24:25], v[26:27], v[146:147]
	v_add_f64 v[88:89], v[16:17], -v[14:15]
	v_add_f64 v[138:139], v[118:119], -v[171:172]
	v_fma_f64 v[116:117], v[116:117], 2.0, -v[136:137]
	v_add_f64 v[150:151], v[134:135], -v[179:180]
	v_fma_f64 v[181:182], v[183:184], v[144:145], v[24:25]
	v_mul_f64 v[24:25], v[26:27], v[144:145]
	v_add_f64 v[26:27], v[10:11], -v[12:13]
	v_fma_f64 v[14:15], v[16:17], 2.0, -v[88:89]
	v_fma_f64 v[16:17], v[18:19], 2.0, -v[90:91]
	;; [unrolled: 1-line block ×3, first 2 shown]
	v_add_f64 v[144:145], v[124:125], -v[173:174]
	v_fma_f64 v[134:135], v[134:135], 2.0, -v[150:151]
	v_add_f64 v[100:101], v[140:141], -v[181:182]
	v_fma_f64 v[183:184], v[183:184], v[146:147], -v[24:25]
	v_add_f64 v[24:25], v[8:9], -v[148:149]
	v_fma_f64 v[74:75], v[10:11], 2.0, -v[26:27]
	v_add_f64 v[146:147], v[126:127], -v[175:176]
	v_add_f64 v[148:149], v[132:133], -v[177:178]
	v_fma_f64 v[124:125], v[124:125], 2.0, -v[144:145]
	v_fma_f64 v[10:11], v[140:141], 2.0, -v[100:101]
	v_add_f64 v[102:103], v[142:143], -v[183:184]
	v_fma_f64 v[72:73], v[8:9], 2.0, -v[24:25]
	buffer_load_dword v8, off, s[36:39], 0 offset:420 ; 4-byte Folded Reload
	v_fma_f64 v[126:127], v[126:127], 2.0, -v[146:147]
	v_fma_f64 v[132:133], v[132:133], 2.0, -v[148:149]
	s_waitcnt vmcnt(0)
	ds_write_b128 v8, v[72:75]
	ds_write_b128 v8, v[24:27] offset:32
	buffer_load_dword v8, off, s[36:39], 0 offset:428 ; 4-byte Folded Reload
	v_fma_f64 v[12:13], v[142:143], 2.0, -v[102:103]
	s_waitcnt vmcnt(0)
	ds_write_b128 v8, v[14:17]
	ds_write_b128 v8, v[88:91] offset:32
	buffer_load_dword v8, off, s[36:39], 0 offset:436 ; 4-byte Folded Reload
	s_waitcnt vmcnt(0)
	ds_write_b128 v8, v[28:31]
	ds_write_b128 v8, v[96:99] offset:32
	buffer_load_dword v8, off, s[36:39], 0 offset:444 ; 4-byte Folded Reload
	;; [unrolled: 4-line block ×8, first 2 shown]
	s_waitcnt vmcnt(0)
	ds_write_b128 v8, v[10:13]
	ds_write_b128 v8, v[100:103] offset:32
	s_waitcnt lgkmcnt(0)
	; wave barrier
	s_waitcnt lgkmcnt(0)
	ds_read_b128 v[108:111], v156
	ds_read_b128 v[144:147], v156 offset:6720
	ds_read_b128 v[140:143], v156 offset:13440
	;; [unrolled: 1-line block ×17, first 2 shown]
	s_and_saveexec_b64 s[6:7], s[0:1]
	s_cbranch_execz .LBB0_15
; %bb.14:
	ds_read_b128 v[10:13], v156 offset:6048
	ds_read_b128 v[100:103], v156 offset:12768
	;; [unrolled: 1-line block ×3, first 2 shown]
.LBB0_15:
	s_or_b64 exec, exec, s[6:7]
	buffer_load_dword v159, off, s[36:39], 0 offset:360 ; 4-byte Folded Reload
	buffer_load_dword v160, off, s[36:39], 0 offset:364 ; 4-byte Folded Reload
	;; [unrolled: 1-line block ×6, first 2 shown]
	s_waitcnt lgkmcnt(14)
	v_mul_f64 v[8:9], v[94:95], v[146:147]
	v_mul_f64 v[18:19], v[94:95], v[144:145]
	s_mov_b32 s6, 0xe8584caa
	s_mov_b32 s7, 0xbfebb67a
	;; [unrolled: 1-line block ×4, first 2 shown]
	v_fma_f64 v[8:9], v[92:93], v[144:145], v[8:9]
	v_fma_f64 v[144:145], v[92:93], v[146:147], -v[18:19]
	v_mul_f64 v[18:19], v[82:83], v[142:143]
	v_fma_f64 v[146:147], v[80:81], v[140:141], v[18:19]
	v_mul_f64 v[18:19], v[82:83], v[140:141]
	v_fma_f64 v[140:141], v[80:81], v[142:143], -v[18:19]
	s_waitcnt vmcnt(2) lgkmcnt(13)
	v_mul_f64 v[18:19], v[161:162], v[138:139]
	s_waitcnt vmcnt(0)
	v_fma_f64 v[142:143], v[148:149], v[136:137], v[18:19]
	v_mul_f64 v[18:19], v[161:162], v[136:137]
	buffer_load_dword v161, off, s[36:39], 0 offset:344 ; 4-byte Folded Reload
	buffer_load_dword v162, off, s[36:39], 0 offset:348 ; 4-byte Folded Reload
	;; [unrolled: 1-line block ×8, first 2 shown]
	v_fma_f64 v[136:137], v[148:149], v[138:139], -v[18:19]
	s_waitcnt vmcnt(4) lgkmcnt(12)
	v_mul_f64 v[18:19], v[163:164], v[134:135]
	s_waitcnt vmcnt(0)
	v_fma_f64 v[138:139], v[167:168], v[132:133], v[18:19]
	v_mul_f64 v[18:19], v[163:164], v[132:133]
	v_fma_f64 v[132:133], v[167:168], v[134:135], -v[18:19]
	buffer_load_dword v167, off, s[36:39], 0 offset:500 ; 4-byte Folded Reload
	buffer_load_dword v168, off, s[36:39], 0 offset:504 ; 4-byte Folded Reload
	;; [unrolled: 1-line block ×6, first 2 shown]
	s_waitcnt vmcnt(2) lgkmcnt(10)
	v_mul_f64 v[18:19], v[169:170], v[130:131]
	s_waitcnt vmcnt(0)
	v_fma_f64 v[134:135], v[148:149], v[128:129], v[18:19]
	v_mul_f64 v[18:19], v[169:170], v[128:129]
	buffer_load_dword v169, off, s[36:39], 0 offset:524 ; 4-byte Folded Reload
	buffer_load_dword v170, off, s[36:39], 0 offset:528 ; 4-byte Folded Reload
	;; [unrolled: 1-line block ×8, first 2 shown]
	v_fma_f64 v[128:129], v[148:149], v[130:131], -v[18:19]
	buffer_load_dword v148, off, s[36:39], 0 offset:608 ; 4-byte Folded Reload
	buffer_load_dword v149, off, s[36:39], 0 offset:612 ; 4-byte Folded Reload
	;; [unrolled: 1-line block ×4, first 2 shown]
	s_waitcnt vmcnt(8) lgkmcnt(9)
	v_mul_f64 v[18:19], v[171:172], v[126:127]
	s_waitcnt vmcnt(4)
	v_fma_f64 v[130:131], v[175:176], v[124:125], v[18:19]
	v_mul_f64 v[18:19], v[171:172], v[124:125]
	v_fma_f64 v[124:125], v[175:176], v[126:127], -v[18:19]
	s_waitcnt vmcnt(0) lgkmcnt(7)
	v_mul_f64 v[18:19], v[150:151], v[122:123]
	v_fma_f64 v[126:127], v[148:149], v[120:121], v[18:19]
	v_mul_f64 v[18:19], v[150:151], v[120:121]
	buffer_load_dword v150, off, s[36:39], 0 offset:592 ; 4-byte Folded Reload
	buffer_load_dword v151, off, s[36:39], 0 offset:596 ; 4-byte Folded Reload
	buffer_load_dword v152, off, s[36:39], 0 offset:600 ; 4-byte Folded Reload
	buffer_load_dword v153, off, s[36:39], 0 offset:604 ; 4-byte Folded Reload
	v_fma_f64 v[122:123], v[148:149], v[122:123], -v[18:19]
	s_waitcnt vmcnt(0) lgkmcnt(6)
	v_mul_f64 v[18:19], v[152:153], v[106:107]
	v_fma_f64 v[148:149], v[150:151], v[104:105], v[18:19]
	v_mul_f64 v[18:19], v[152:153], v[104:105]
	v_fma_f64 v[150:151], v[150:151], v[106:107], -v[18:19]
	s_waitcnt lgkmcnt(4)
	v_mul_f64 v[18:19], v[94:95], v[74:75]
	v_add_f64 v[106:107], v[142:143], -v[138:139]
	v_fma_f64 v[152:153], v[92:93], v[72:73], v[18:19]
	v_mul_f64 v[18:19], v[94:95], v[72:73]
	v_fma_f64 v[154:155], v[92:93], v[74:75], -v[18:19]
	s_waitcnt lgkmcnt(3)
	v_mul_f64 v[18:19], v[82:83], v[30:31]
	v_fma_f64 v[157:158], v[80:81], v[28:29], v[18:19]
	v_mul_f64 v[18:19], v[82:83], v[28:29]
	buffer_load_dword v28, off, s[36:39], 0 offset:624 ; 4-byte Folded Reload
	buffer_load_dword v29, off, s[36:39], 0 offset:628 ; 4-byte Folded Reload
	;; [unrolled: 1-line block ×4, first 2 shown]
	s_waitcnt lgkmcnt(0)
	; wave barrier
	s_waitcnt lgkmcnt(0)
	v_fma_f64 v[30:31], v[80:81], v[30:31], -v[18:19]
	v_mul_f64 v[18:19], v[165:166], v[118:119]
	v_fma_f64 v[80:81], v[159:160], v[116:117], v[18:19]
	v_mul_f64 v[18:19], v[165:166], v[116:117]
	v_fma_f64 v[82:83], v[159:160], v[118:119], -v[18:19]
	s_waitcnt vmcnt(2)
	v_mul_f64 v[18:19], v[28:29], v[114:115]
	v_fma_f64 v[159:160], v[161:162], v[112:113], v[18:19]
	v_mul_f64 v[18:19], v[28:29], v[112:113]
	v_mul_f64 v[28:29], v[173:174], v[100:101]
	v_fma_f64 v[161:162], v[161:162], v[114:115], -v[18:19]
	v_fma_f64 v[163:164], v[167:168], v[102:103], -v[28:29]
	s_waitcnt vmcnt(0)
	v_mul_f64 v[28:29], v[72:73], v[78:79]
	v_mul_f64 v[72:73], v[72:73], v[76:77]
	;; [unrolled: 1-line block ×3, first 2 shown]
	v_add_f64 v[102:103], v[136:137], -v[132:133]
	v_add_f64 v[114:115], v[134:135], -v[130:131]
	v_fma_f64 v[28:29], v[169:170], v[76:77], v[28:29]
	v_fma_f64 v[165:166], v[169:170], v[78:79], -v[72:73]
	v_add_f64 v[72:73], v[108:109], v[8:9]
	v_add_f64 v[78:79], v[144:145], -v[140:141]
	v_fma_f64 v[18:19], v[167:168], v[100:101], v[18:19]
	v_add_f64 v[76:77], v[72:73], v[146:147]
	v_add_f64 v[72:73], v[8:9], v[146:147]
	v_add_f64 v[8:9], v[8:9], -v[146:147]
	v_fma_f64 v[74:75], v[72:73], -0.5, v[108:109]
	v_fma_f64 v[72:73], v[78:79], s[6:7], v[74:75]
	v_fma_f64 v[92:93], v[78:79], s[12:13], v[74:75]
	v_add_f64 v[74:75], v[110:111], v[144:145]
	v_add_f64 v[78:79], v[74:75], v[140:141]
	v_add_f64 v[74:75], v[144:145], v[140:141]
	v_fma_f64 v[94:95], v[74:75], -0.5, v[110:111]
	v_add_f64 v[110:111], v[128:129], -v[124:125]
	v_fma_f64 v[74:75], v[8:9], s[12:13], v[94:95]
	v_fma_f64 v[94:95], v[8:9], s[6:7], v[94:95]
	v_add_f64 v[8:9], v[96:97], v[142:143]
	v_add_f64 v[100:101], v[8:9], v[138:139]
	v_add_f64 v[8:9], v[142:143], v[138:139]
	v_fma_f64 v[8:9], v[8:9], -0.5, v[96:97]
	v_fma_f64 v[96:97], v[102:103], s[6:7], v[8:9]
	v_fma_f64 v[104:105], v[102:103], s[12:13], v[8:9]
	v_add_f64 v[8:9], v[98:99], v[136:137]
	v_add_f64 v[102:103], v[8:9], v[132:133]
	v_add_f64 v[8:9], v[136:137], v[132:133]
	v_fma_f64 v[8:9], v[8:9], -0.5, v[98:99]
	;; [unrolled: 6-line block ×5, first 2 shown]
	v_add_f64 v[84:85], v[122:123], -v[150:151]
	v_fma_f64 v[120:121], v[84:85], s[6:7], v[8:9]
	v_fma_f64 v[124:125], v[84:85], s[12:13], v[8:9]
	v_add_f64 v[8:9], v[86:87], v[122:123]
	v_add_f64 v[84:85], v[126:127], -v[148:149]
	v_add_f64 v[118:119], v[8:9], v[150:151]
	v_add_f64 v[8:9], v[122:123], v[150:151]
	v_fma_f64 v[8:9], v[8:9], -0.5, v[86:87]
	v_fma_f64 v[122:123], v[84:85], s[12:13], v[8:9]
	v_fma_f64 v[126:127], v[84:85], s[6:7], v[8:9]
	v_add_f64 v[8:9], v[24:25], v[152:153]
	v_add_f64 v[84:85], v[154:155], -v[30:31]
	v_add_f64 v[128:129], v[8:9], v[157:158]
	v_add_f64 v[8:9], v[152:153], v[157:158]
	v_fma_f64 v[8:9], v[8:9], -0.5, v[24:25]
	v_fma_f64 v[24:25], v[84:85], s[6:7], v[8:9]
	v_fma_f64 v[132:133], v[84:85], s[12:13], v[8:9]
	v_add_f64 v[8:9], v[26:27], v[154:155]
	v_add_f64 v[130:131], v[8:9], v[30:31]
	;; [unrolled: 1-line block ×3, first 2 shown]
	v_add_f64 v[30:31], v[152:153], -v[157:158]
	v_fma_f64 v[8:9], v[8:9], -0.5, v[26:27]
	v_fma_f64 v[26:27], v[30:31], s[12:13], v[8:9]
	v_fma_f64 v[134:135], v[30:31], s[6:7], v[8:9]
	v_add_f64 v[8:9], v[14:15], v[80:81]
	v_add_f64 v[30:31], v[82:83], -v[161:162]
	v_add_f64 v[136:137], v[8:9], v[159:160]
	v_add_f64 v[8:9], v[80:81], v[159:160]
	v_fma_f64 v[8:9], v[8:9], -0.5, v[14:15]
	v_fma_f64 v[14:15], v[30:31], s[6:7], v[8:9]
	v_fma_f64 v[140:141], v[30:31], s[12:13], v[8:9]
	v_add_f64 v[8:9], v[16:17], v[82:83]
	v_add_f64 v[30:31], v[80:81], -v[159:160]
	v_add_f64 v[138:139], v[8:9], v[161:162]
	v_add_f64 v[8:9], v[82:83], v[161:162]
	v_fma_f64 v[8:9], v[8:9], -0.5, v[16:17]
	v_fma_f64 v[16:17], v[30:31], s[12:13], v[8:9]
	v_fma_f64 v[142:143], v[30:31], s[6:7], v[8:9]
	v_add_f64 v[30:31], v[18:19], v[28:29]
	v_add_f64 v[8:9], v[10:11], v[18:19]
	v_add_f64 v[18:19], v[18:19], -v[28:29]
	v_fma_f64 v[10:11], v[30:31], -0.5, v[10:11]
	v_add_f64 v[30:31], v[163:164], -v[165:166]
	v_add_f64 v[8:9], v[8:9], v[28:29]
	v_fma_f64 v[80:81], v[30:31], s[6:7], v[10:11]
	v_fma_f64 v[84:85], v[30:31], s[12:13], v[10:11]
	v_add_f64 v[30:31], v[163:164], v[165:166]
	v_add_f64 v[10:11], v[12:13], v[163:164]
	v_fma_f64 v[12:13], v[30:31], -0.5, v[12:13]
	v_add_f64 v[10:11], v[10:11], v[165:166]
	v_fma_f64 v[82:83], v[18:19], s[12:13], v[12:13]
	v_fma_f64 v[86:87], v[18:19], s[6:7], v[12:13]
	buffer_load_dword v12, off, s[36:39], 0 offset:640 ; 4-byte Folded Reload
	s_waitcnt vmcnt(0)
	ds_write_b128 v12, v[76:79]
	ds_write_b128 v12, v[72:75] offset:64
	ds_write_b128 v12, v[92:95] offset:128
	buffer_load_dword v12, off, s[36:39], 0 offset:644 ; 4-byte Folded Reload
	s_waitcnt vmcnt(0)
	ds_write_b128 v12, v[100:103]
	ds_write_b128 v12, v[96:99] offset:64
	ds_write_b128 v12, v[104:107] offset:128
	;; [unrolled: 5-line block ×6, first 2 shown]
	s_and_saveexec_b64 s[6:7], s[0:1]
	s_cbranch_execz .LBB0_17
; %bb.16:
	buffer_load_dword v12, off, s[36:39], 0 offset:904 ; 4-byte Folded Reload
	buffer_load_dword v13, off, s[36:39], 0 offset:900 ; 4-byte Folded Reload
	s_waitcnt vmcnt(1)
	v_mul_u32_u24_e32 v12, 12, v12
	s_waitcnt vmcnt(0)
	v_or_b32_e32 v12, v12, v13
	v_lshlrev_b32_e32 v12, 4, v12
	ds_write_b128 v12, v[8:11]
	ds_write_b128 v12, v[80:83] offset:64
	ds_write_b128 v12, v[84:87] offset:128
.LBB0_17:
	s_or_b64 exec, exec, s[6:7]
	s_waitcnt lgkmcnt(0)
	; wave barrier
	s_waitcnt lgkmcnt(0)
	ds_read_b128 v[92:95], v156
	ds_read_b128 v[88:91], v156 offset:1008
	ds_read_b128 v[132:135], v156 offset:6720
	;; [unrolled: 1-line block ×17, first 2 shown]
	s_and_saveexec_b64 s[6:7], s[0:1]
	s_cbranch_execz .LBB0_19
; %bb.18:
	ds_read_b128 v[8:11], v156 offset:6048
	ds_read_b128 v[80:83], v156 offset:12768
	;; [unrolled: 1-line block ×3, first 2 shown]
.LBB0_19:
	s_or_b64 exec, exec, s[6:7]
	buffer_load_dword v138, off, s[36:39], 0 offset:680 ; 4-byte Folded Reload
	buffer_load_dword v139, off, s[36:39], 0 offset:684 ; 4-byte Folded Reload
	;; [unrolled: 1-line block ×4, first 2 shown]
	s_mov_b32 s12, 0xe8584caa
	s_mov_b32 s13, 0xbfebb67a
	;; [unrolled: 1-line block ×4, first 2 shown]
	s_waitcnt vmcnt(0) lgkmcnt(14)
	v_mul_f64 v[136:137], v[140:141], v[134:135]
	v_fma_f64 v[136:137], v[138:139], v[132:133], v[136:137]
	v_mul_f64 v[132:133], v[140:141], v[132:133]
	v_fma_f64 v[132:133], v[138:139], v[134:135], -v[132:133]
	buffer_load_dword v138, off, s[36:39], 0 offset:664 ; 4-byte Folded Reload
	buffer_load_dword v139, off, s[36:39], 0 offset:668 ; 4-byte Folded Reload
	;; [unrolled: 1-line block ×4, first 2 shown]
	s_waitcnt vmcnt(0) lgkmcnt(13)
	v_mul_f64 v[134:135], v[140:141], v[130:131]
	v_fma_f64 v[134:135], v[138:139], v[128:129], v[134:135]
	v_mul_f64 v[128:129], v[140:141], v[128:129]
	v_fma_f64 v[128:129], v[138:139], v[130:131], -v[128:129]
	buffer_load_dword v138, off, s[36:39], 0 offset:712 ; 4-byte Folded Reload
	buffer_load_dword v139, off, s[36:39], 0 offset:716 ; 4-byte Folded Reload
	;; [unrolled: 1-line block ×4, first 2 shown]
	s_waitcnt vmcnt(0)
	v_mul_f64 v[130:131], v[140:141], v[126:127]
	v_fma_f64 v[130:131], v[138:139], v[124:125], v[130:131]
	v_mul_f64 v[124:125], v[140:141], v[124:125]
	v_fma_f64 v[124:125], v[138:139], v[126:127], -v[124:125]
	buffer_load_dword v138, off, s[36:39], 0 offset:696 ; 4-byte Folded Reload
	buffer_load_dword v139, off, s[36:39], 0 offset:700 ; 4-byte Folded Reload
	buffer_load_dword v140, off, s[36:39], 0 offset:704 ; 4-byte Folded Reload
	buffer_load_dword v141, off, s[36:39], 0 offset:708 ; 4-byte Folded Reload
	s_waitcnt vmcnt(0) lgkmcnt(12)
	v_mul_f64 v[126:127], v[140:141], v[122:123]
	v_fma_f64 v[126:127], v[138:139], v[120:121], v[126:127]
	v_mul_f64 v[120:121], v[140:141], v[120:121]
	v_fma_f64 v[120:121], v[138:139], v[122:123], -v[120:121]
	buffer_load_dword v138, off, s[36:39], 0 offset:744 ; 4-byte Folded Reload
	buffer_load_dword v139, off, s[36:39], 0 offset:748 ; 4-byte Folded Reload
	buffer_load_dword v140, off, s[36:39], 0 offset:752 ; 4-byte Folded Reload
	buffer_load_dword v141, off, s[36:39], 0 offset:756 ; 4-byte Folded Reload
	s_waitcnt vmcnt(0) lgkmcnt(9)
	;; [unrolled: 9-line block ×3, first 2 shown]
	v_mul_f64 v[118:119], v[140:141], v[114:115]
	v_fma_f64 v[118:119], v[138:139], v[112:113], v[118:119]
	v_mul_f64 v[112:113], v[140:141], v[112:113]
	buffer_load_dword v140, off, s[36:39], 0 offset:776 ; 4-byte Folded Reload
	buffer_load_dword v141, off, s[36:39], 0 offset:780 ; 4-byte Folded Reload
	;; [unrolled: 1-line block ×4, first 2 shown]
	v_fma_f64 v[114:115], v[138:139], v[114:115], -v[112:113]
	s_waitcnt vmcnt(0)
	v_mul_f64 v[112:113], v[142:143], v[110:111]
	v_fma_f64 v[138:139], v[140:141], v[108:109], v[112:113]
	v_mul_f64 v[108:109], v[142:143], v[108:109]
	v_fma_f64 v[140:141], v[140:141], v[110:111], -v[108:109]
	buffer_load_dword v110, off, s[36:39], 0 offset:760 ; 4-byte Folded Reload
	buffer_load_dword v111, off, s[36:39], 0 offset:764 ; 4-byte Folded Reload
	buffer_load_dword v112, off, s[36:39], 0 offset:768 ; 4-byte Folded Reload
	buffer_load_dword v113, off, s[36:39], 0 offset:772 ; 4-byte Folded Reload
	s_waitcnt vmcnt(0) lgkmcnt(6)
	v_mul_f64 v[108:109], v[112:113], v[106:107]
	v_fma_f64 v[142:143], v[110:111], v[104:105], v[108:109]
	v_mul_f64 v[104:105], v[112:113], v[104:105]
	v_fma_f64 v[144:145], v[110:111], v[106:107], -v[104:105]
	buffer_load_dword v106, off, s[36:39], 0 offset:808 ; 4-byte Folded Reload
	buffer_load_dword v107, off, s[36:39], 0 offset:812 ; 4-byte Folded Reload
	buffer_load_dword v108, off, s[36:39], 0 offset:816 ; 4-byte Folded Reload
	buffer_load_dword v109, off, s[36:39], 0 offset:820 ; 4-byte Folded Reload
	s_waitcnt vmcnt(0) lgkmcnt(3)
	;; [unrolled: 9-line block ×3, first 2 shown]
	v_mul_f64 v[72:73], v[106:107], v[30:31]
	v_fma_f64 v[150:151], v[104:105], v[28:29], v[72:73]
	buffer_load_dword v72, off, s[36:39], 0 offset:840 ; 4-byte Folded Reload
	buffer_load_dword v73, off, s[36:39], 0 offset:844 ; 4-byte Folded Reload
	;; [unrolled: 1-line block ×4, first 2 shown]
	v_mul_f64 v[28:29], v[106:107], v[28:29]
	v_add_f64 v[106:107], v[122:123], v[118:119]
	v_fma_f64 v[152:153], v[104:105], v[30:31], -v[28:29]
	v_mul_f64 v[30:31], v[194:195], v[80:81]
	v_add_f64 v[104:105], v[130:131], -v[126:127]
	s_waitcnt vmcnt(0)
	v_mul_f64 v[28:29], v[74:75], v[102:103]
	v_fma_f64 v[154:155], v[72:73], v[100:101], v[28:29]
	v_mul_f64 v[28:29], v[74:75], v[100:101]
	v_add_f64 v[100:101], v[124:125], -v[120:121]
	v_fma_f64 v[157:158], v[72:73], v[102:103], -v[28:29]
	buffer_load_dword v72, off, s[36:39], 0 offset:824 ; 4-byte Folded Reload
	buffer_load_dword v73, off, s[36:39], 0 offset:828 ; 4-byte Folded Reload
	;; [unrolled: 1-line block ×4, first 2 shown]
	v_add_f64 v[102:103], v[124:125], v[120:121]
	s_waitcnt lgkmcnt(0)
	; wave barrier
	s_waitcnt lgkmcnt(0)
	v_fma_f64 v[102:103], v[102:103], -0.5, v[90:91]
	s_waitcnt vmcnt(0)
	v_mul_f64 v[28:29], v[74:75], v[98:99]
	v_fma_f64 v[159:160], v[72:73], v[96:97], v[28:29]
	v_mul_f64 v[28:29], v[74:75], v[96:97]
	v_fma_f64 v[74:75], v[192:193], v[82:83], -v[30:31]
	v_mul_f64 v[30:31], v[190:191], v[86:87]
	v_add_f64 v[96:97], v[136:137], -v[134:135]
	v_fma_f64 v[161:162], v[72:73], v[98:99], -v[28:29]
	v_mul_f64 v[28:29], v[194:195], v[82:83]
	v_mul_f64 v[72:73], v[190:191], v[84:85]
	v_add_f64 v[82:83], v[136:137], v[134:135]
	v_fma_f64 v[30:31], v[188:189], v[84:85], v[30:31]
	v_add_f64 v[98:99], v[130:131], v[126:127]
	v_fma_f64 v[28:29], v[192:193], v[80:81], v[28:29]
	v_fma_f64 v[72:73], v[188:189], v[86:87], -v[72:73]
	v_fma_f64 v[82:83], v[82:83], -0.5, v[92:93]
	v_add_f64 v[86:87], v[132:133], -v[128:129]
	v_add_f64 v[80:81], v[92:93], v[136:137]
	v_fma_f64 v[98:99], v[98:99], -0.5, v[88:89]
	v_fma_f64 v[84:85], v[86:87], s[12:13], v[82:83]
	v_fma_f64 v[92:93], v[86:87], s[6:7], v[82:83]
	v_add_f64 v[86:87], v[132:133], v[128:129]
	v_add_f64 v[82:83], v[94:95], v[132:133]
	;; [unrolled: 1-line block ×3, first 2 shown]
	v_fma_f64 v[94:95], v[86:87], -0.5, v[94:95]
	v_add_f64 v[82:83], v[82:83], v[128:129]
	v_fma_f64 v[86:87], v[96:97], s[6:7], v[94:95]
	v_fma_f64 v[94:95], v[96:97], s[12:13], v[94:95]
	v_add_f64 v[96:97], v[88:89], v[130:131]
	v_fma_f64 v[88:89], v[100:101], s[12:13], v[98:99]
	v_fma_f64 v[100:101], v[100:101], s[6:7], v[98:99]
	;; [unrolled: 3-line block ×3, first 2 shown]
	v_add_f64 v[104:105], v[76:77], v[122:123]
	v_fma_f64 v[76:77], v[106:107], -0.5, v[76:77]
	v_add_f64 v[106:107], v[116:117], -v[114:115]
	v_add_f64 v[96:97], v[96:97], v[126:127]
	v_add_f64 v[98:99], v[98:99], v[120:121]
	;; [unrolled: 1-line block ×3, first 2 shown]
	v_fma_f64 v[108:109], v[106:107], s[12:13], v[76:77]
	v_fma_f64 v[112:113], v[106:107], s[6:7], v[76:77]
	v_add_f64 v[76:77], v[78:79], v[116:117]
	v_add_f64 v[106:107], v[76:77], v[114:115]
	v_add_f64 v[76:77], v[116:117], v[114:115]
	v_fma_f64 v[76:77], v[76:77], -0.5, v[78:79]
	v_add_f64 v[78:79], v[122:123], -v[118:119]
	v_fma_f64 v[110:111], v[78:79], s[6:7], v[76:77]
	v_fma_f64 v[114:115], v[78:79], s[12:13], v[76:77]
	v_add_f64 v[76:77], v[24:25], v[138:139]
	v_add_f64 v[78:79], v[140:141], -v[144:145]
	v_add_f64 v[116:117], v[76:77], v[142:143]
	v_add_f64 v[76:77], v[138:139], v[142:143]
	v_fma_f64 v[76:77], v[76:77], -0.5, v[24:25]
	v_fma_f64 v[24:25], v[78:79], s[12:13], v[76:77]
	v_fma_f64 v[120:121], v[78:79], s[6:7], v[76:77]
	v_add_f64 v[76:77], v[26:27], v[140:141]
	v_add_f64 v[78:79], v[138:139], -v[142:143]
	v_add_f64 v[118:119], v[76:77], v[144:145]
	v_add_f64 v[76:77], v[140:141], v[144:145]
	v_fma_f64 v[76:77], v[76:77], -0.5, v[26:27]
	v_fma_f64 v[26:27], v[78:79], s[6:7], v[76:77]
	v_fma_f64 v[122:123], v[78:79], s[12:13], v[76:77]
	v_add_f64 v[76:77], v[16:17], v[146:147]
	v_add_f64 v[124:125], v[76:77], v[150:151]
	;; [unrolled: 1-line block ×3, first 2 shown]
	v_fma_f64 v[16:17], v[76:77], -0.5, v[16:17]
	v_add_f64 v[76:77], v[148:149], -v[152:153]
	v_fma_f64 v[128:129], v[76:77], s[12:13], v[16:17]
	v_fma_f64 v[132:133], v[76:77], s[6:7], v[16:17]
	v_add_f64 v[16:17], v[18:19], v[148:149]
	v_add_f64 v[126:127], v[16:17], v[152:153]
	;; [unrolled: 1-line block ×3, first 2 shown]
	buffer_load_dword v148, off, s[36:39], 0 offset:860 ; 4-byte Folded Reload
	s_waitcnt vmcnt(0)
	ds_write_b128 v148, v[80:83]
	ds_write_b128 v148, v[84:87] offset:192
	ds_write_b128 v148, v[92:95] offset:384
	buffer_load_dword v80, off, s[36:39], 0 offset:864 ; 4-byte Folded Reload
	v_fma_f64 v[16:17], v[16:17], -0.5, v[18:19]
	v_add_f64 v[18:19], v[146:147], -v[150:151]
	s_waitcnt vmcnt(0)
	ds_write_b128 v80, v[96:99]
	ds_write_b128 v80, v[88:91] offset:192
	ds_write_b128 v80, v[100:103] offset:384
	buffer_load_dword v80, off, s[36:39], 0 offset:868 ; 4-byte Folded Reload
	v_fma_f64 v[130:131], v[18:19], s[6:7], v[16:17]
	v_fma_f64 v[134:135], v[18:19], s[12:13], v[16:17]
	v_add_f64 v[16:17], v[12:13], v[154:155]
	v_add_f64 v[18:19], v[28:29], -v[30:31]
	s_waitcnt vmcnt(0)
	ds_write_b128 v80, v[104:107]
	ds_write_b128 v80, v[108:111] offset:192
	ds_write_b128 v80, v[112:115] offset:384
	buffer_load_dword v80, off, s[36:39], 0 offset:872 ; 4-byte Folded Reload
	v_add_f64 v[136:137], v[16:17], v[159:160]
	v_add_f64 v[16:17], v[154:155], v[159:160]
	s_waitcnt vmcnt(0)
	ds_write_b128 v80, v[116:119]
	ds_write_b128 v80, v[24:27] offset:192
	ds_write_b128 v80, v[120:123] offset:384
	buffer_load_dword v24, off, s[36:39], 0 offset:876 ; 4-byte Folded Reload
	v_fma_f64 v[12:13], v[16:17], -0.5, v[12:13]
	v_add_f64 v[16:17], v[157:158], -v[161:162]
	s_waitcnt vmcnt(0)
	ds_write_b128 v24, v[124:127]
	ds_write_b128 v24, v[128:131] offset:192
	ds_write_b128 v24, v[132:135] offset:384
	buffer_load_dword v24, off, s[36:39], 0 offset:880 ; 4-byte Folded Reload
	v_fma_f64 v[140:141], v[16:17], s[12:13], v[12:13]
	v_fma_f64 v[144:145], v[16:17], s[6:7], v[12:13]
	v_add_f64 v[12:13], v[14:15], v[157:158]
	v_add_f64 v[16:17], v[74:75], v[72:73]
	;; [unrolled: 1-line block ×4, first 2 shown]
	v_fma_f64 v[16:17], v[16:17], -0.5, v[10:11]
	v_fma_f64 v[12:13], v[12:13], -0.5, v[14:15]
	v_add_f64 v[14:15], v[154:155], -v[159:160]
	v_fma_f64 v[78:79], v[18:19], s[12:13], v[16:17]
	v_fma_f64 v[142:143], v[14:15], s[6:7], v[12:13]
	;; [unrolled: 1-line block ×3, first 2 shown]
	v_add_f64 v[12:13], v[28:29], v[30:31]
	v_add_f64 v[14:15], v[74:75], -v[72:73]
	s_waitcnt vmcnt(0)
	ds_write_b128 v24, v[136:139]
	ds_write_b128 v24, v[140:143] offset:192
	ds_write_b128 v24, v[144:147] offset:384
	v_fma_f64 v[12:13], v[12:13], -0.5, v[8:9]
	v_fma_f64 v[76:77], v[14:15], s[6:7], v[12:13]
	s_and_saveexec_b64 s[12:13], s[0:1]
	s_cbranch_execz .LBB0_21
; %bb.20:
	v_add_f64 v[8:9], v[8:9], v[28:29]
	v_mul_f64 v[26:27], v[14:15], s[6:7]
	v_mul_f64 v[18:19], v[18:19], s[6:7]
	v_add_f64 v[24:25], v[10:11], v[74:75]
	v_add_f64 v[14:15], v[8:9], v[30:31]
	v_add_f64 v[8:9], v[12:13], -v[26:27]
	buffer_load_dword v12, off, s[36:39], 0 offset:856 ; 4-byte Folded Reload
	v_add_f64 v[10:11], v[18:19], v[16:17]
	v_add_f64 v[16:17], v[24:25], v[72:73]
	s_waitcnt vmcnt(0)
	v_lshlrev_b32_e32 v12, 4, v12
	ds_write_b128 v12, v[14:17]
	ds_write_b128 v12, v[8:11] offset:192
	ds_write_b128 v12, v[76:79] offset:384
.LBB0_21:
	s_or_b64 exec, exec, s[12:13]
	s_waitcnt lgkmcnt(0)
	; wave barrier
	s_waitcnt lgkmcnt(0)
	ds_read_b128 v[86:89], v156
	ds_read_b128 v[12:15], v156 offset:4032
	ds_read_b128 v[28:31], v156 offset:8064
	;; [unrolled: 1-line block ×19, first 2 shown]
	s_waitcnt lgkmcnt(14)
	v_mul_f64 v[84:85], v[210:211], v[14:15]
	s_mov_b32 s12, 0x134454ff
	s_mov_b32 s13, 0xbfee6f0e
	;; [unrolled: 1-line block ×7, first 2 shown]
	v_fma_f64 v[112:113], v[208:209], v[12:13], v[84:85]
	v_mul_f64 v[12:13], v[210:211], v[12:13]
	s_mov_b32 s16, s6
	s_mov_b32 s0, 0x372fe950
	;; [unrolled: 1-line block ×3, first 2 shown]
	s_waitcnt lgkmcnt(0)
	; wave barrier
	s_waitcnt lgkmcnt(0)
	v_fma_f64 v[116:117], v[208:209], v[14:15], -v[12:13]
	v_mul_f64 v[12:13], v[206:207], v[30:31]
	v_fma_f64 v[169:170], v[204:205], v[28:29], v[12:13]
	v_mul_f64 v[12:13], v[206:207], v[28:29]
	v_add_f64 v[14:15], v[112:113], -v[169:170]
	v_fma_f64 v[171:172], v[204:205], v[30:31], -v[12:13]
	v_mul_f64 v[12:13], v[202:203], v[74:75]
	v_fma_f64 v[173:174], v[200:201], v[72:73], v[12:13]
	v_mul_f64 v[12:13], v[202:203], v[72:73]
	v_fma_f64 v[175:176], v[200:201], v[74:75], -v[12:13]
	v_mul_f64 v[12:13], v[198:199], v[82:83]
	v_fma_f64 v[177:178], v[196:197], v[80:81], v[12:13]
	v_mul_f64 v[12:13], v[198:199], v[80:81]
	v_add_f64 v[80:81], v[177:178], -v[173:174]
	v_fma_f64 v[179:180], v[196:197], v[82:83], -v[12:13]
	v_mul_f64 v[12:13], v[226:227], v[92:93]
	v_add_f64 v[82:83], v[173:174], -v[177:178]
	v_add_f64 v[14:15], v[14:15], v[80:81]
	v_fma_f64 v[110:111], v[224:225], v[90:91], v[12:13]
	v_mul_f64 v[12:13], v[226:227], v[90:91]
	v_fma_f64 v[118:119], v[224:225], v[92:93], -v[12:13]
	v_mul_f64 v[12:13], v[222:223], v[96:97]
	v_fma_f64 v[114:115], v[220:221], v[94:95], v[12:13]
	v_mul_f64 v[12:13], v[222:223], v[94:95]
	v_fma_f64 v[120:121], v[220:221], v[96:97], -v[12:13]
	v_mul_f64 v[12:13], v[218:219], v[100:101]
	v_fma_f64 v[144:145], v[216:217], v[98:99], v[12:13]
	v_mul_f64 v[12:13], v[218:219], v[98:99]
	v_add_f64 v[98:99], v[175:176], -v[179:180]
	v_fma_f64 v[122:123], v[216:217], v[100:101], -v[12:13]
	v_mul_f64 v[12:13], v[214:215], v[104:105]
	v_fma_f64 v[146:147], v[212:213], v[102:103], v[12:13]
	v_mul_f64 v[12:13], v[214:215], v[102:103]
	v_fma_f64 v[124:125], v[212:213], v[104:105], -v[12:13]
	v_mul_f64 v[12:13], v[246:247], v[108:109]
	v_fma_f64 v[126:127], v[244:245], v[106:107], v[12:13]
	v_mul_f64 v[12:13], v[246:247], v[106:107]
	v_add_f64 v[106:107], v[146:147], -v[144:145]
	v_fma_f64 v[92:93], v[244:245], v[108:109], -v[12:13]
	v_mul_f64 v[12:13], v[238:239], v[130:131]
	v_fma_f64 v[138:139], v[236:237], v[128:129], v[12:13]
	v_mul_f64 v[12:13], v[238:239], v[128:129]
	v_fma_f64 v[132:133], v[236:237], v[130:131], -v[12:13]
	v_mul_f64 v[12:13], v[234:235], v[136:137]
	v_fma_f64 v[140:141], v[232:233], v[134:135], v[12:13]
	v_mul_f64 v[12:13], v[234:235], v[134:135]
	;; [unrolled: 4-line block ×3, first 2 shown]
	v_fma_f64 v[136:137], v[228:229], v[150:151], -v[12:13]
	v_mul_f64 v[12:13], v[6:7], v[154:155]
	v_mul_f64 v[6:7], v[6:7], v[152:153]
	v_fma_f64 v[90:91], v[4:5], v[152:153], v[12:13]
	v_fma_f64 v[28:29], v[4:5], v[154:155], -v[6:7]
	v_mul_f64 v[4:5], v[2:3], v[159:160]
	v_mul_f64 v[2:3], v[2:3], v[157:158]
	v_add_f64 v[6:7], v[171:172], -v[175:176]
	v_fma_f64 v[94:95], v[0:1], v[157:158], v[4:5]
	v_fma_f64 v[30:31], v[0:1], v[159:160], -v[2:3]
	v_mul_f64 v[0:1], v[254:255], v[163:164]
	v_add_f64 v[2:3], v[116:117], -v[179:180]
	v_fma_f64 v[128:129], v[252:253], v[161:162], v[0:1]
	v_mul_f64 v[0:1], v[254:255], v[161:162]
	v_fma_f64 v[72:73], v[252:253], v[163:164], -v[0:1]
	v_mul_f64 v[0:1], v[250:251], v[167:168]
	v_fma_f64 v[130:131], v[248:249], v[165:166], v[0:1]
	v_mul_f64 v[0:1], v[250:251], v[165:166]
	v_fma_f64 v[74:75], v[248:249], v[167:168], -v[0:1]
	v_add_f64 v[0:1], v[86:87], v[112:113]
	v_add_f64 v[0:1], v[0:1], v[169:170]
	;; [unrolled: 1-line block ×5, first 2 shown]
	v_fma_f64 v[0:1], v[0:1], -0.5, v[86:87]
	v_fma_f64 v[4:5], v[2:3], s[12:13], v[0:1]
	v_fma_f64 v[0:1], v[2:3], s[14:15], v[0:1]
	;; [unrolled: 1-line block ×6, first 2 shown]
	v_add_f64 v[0:1], v[112:113], v[177:178]
	v_add_f64 v[14:15], v[169:170], -v[112:113]
	v_fma_f64 v[0:1], v[0:1], -0.5, v[86:87]
	v_add_f64 v[14:15], v[14:15], v[82:83]
	v_add_f64 v[82:83], v[116:117], -v[171:172]
	v_add_f64 v[86:87], v[179:180], -v[175:176]
	v_fma_f64 v[4:5], v[6:7], s[14:15], v[0:1]
	v_fma_f64 v[0:1], v[6:7], s[12:13], v[0:1]
	v_add_f64 v[6:7], v[169:170], -v[173:174]
	v_add_f64 v[82:83], v[82:83], v[86:87]
	v_fma_f64 v[4:5], v[2:3], s[6:7], v[4:5]
	v_fma_f64 v[0:1], v[2:3], s[16:17], v[0:1]
	v_add_f64 v[2:3], v[112:113], -v[177:178]
	v_fma_f64 v[100:101], v[14:15], s[0:1], v[4:5]
	v_fma_f64 v[96:97], v[14:15], s[0:1], v[0:1]
	v_add_f64 v[0:1], v[88:89], v[116:117]
	v_add_f64 v[0:1], v[0:1], v[171:172]
	;; [unrolled: 1-line block ×5, first 2 shown]
	v_fma_f64 v[0:1], v[0:1], -0.5, v[88:89]
	v_fma_f64 v[4:5], v[2:3], s[14:15], v[0:1]
	v_fma_f64 v[0:1], v[2:3], s[12:13], v[0:1]
	;; [unrolled: 1-line block ×6, first 2 shown]
	v_add_f64 v[0:1], v[116:117], v[179:180]
	v_fma_f64 v[0:1], v[0:1], -0.5, v[88:89]
	v_add_f64 v[88:89], v[171:172], -v[116:117]
	v_fma_f64 v[4:5], v[6:7], s[12:13], v[0:1]
	v_fma_f64 v[0:1], v[6:7], s[14:15], v[0:1]
	v_add_f64 v[88:89], v[88:89], v[98:99]
	v_add_f64 v[6:7], v[120:121], -v[122:123]
	v_fma_f64 v[4:5], v[2:3], s[16:17], v[4:5]
	v_fma_f64 v[0:1], v[2:3], s[6:7], v[0:1]
	v_add_f64 v[2:3], v[118:119], -v[124:125]
	v_fma_f64 v[102:103], v[88:89], s[0:1], v[4:5]
	v_fma_f64 v[98:99], v[88:89], s[0:1], v[0:1]
	v_add_f64 v[0:1], v[24:25], v[110:111]
	v_add_f64 v[88:89], v[110:111], -v[114:115]
	v_add_f64 v[0:1], v[0:1], v[114:115]
	v_add_f64 v[88:89], v[88:89], v[106:107]
	;; [unrolled: 1-line block ×5, first 2 shown]
	v_fma_f64 v[0:1], v[0:1], -0.5, v[24:25]
	v_fma_f64 v[4:5], v[2:3], s[12:13], v[0:1]
	v_fma_f64 v[0:1], v[2:3], s[14:15], v[0:1]
	;; [unrolled: 1-line block ×6, first 2 shown]
	v_add_f64 v[0:1], v[110:111], v[146:147]
	v_add_f64 v[88:89], v[144:145], -v[146:147]
	v_fma_f64 v[0:1], v[0:1], -0.5, v[24:25]
	v_add_f64 v[24:25], v[114:115], -v[110:111]
	v_fma_f64 v[4:5], v[6:7], s[14:15], v[0:1]
	v_fma_f64 v[0:1], v[6:7], s[12:13], v[0:1]
	v_add_f64 v[24:25], v[24:25], v[88:89]
	v_add_f64 v[6:7], v[114:115], -v[144:145]
	v_add_f64 v[88:89], v[118:119], -v[120:121]
	v_fma_f64 v[4:5], v[2:3], s[6:7], v[4:5]
	v_fma_f64 v[0:1], v[2:3], s[16:17], v[0:1]
	v_add_f64 v[2:3], v[110:111], -v[146:147]
	v_add_f64 v[110:111], v[124:125], -v[122:123]
	v_fma_f64 v[116:117], v[24:25], s[0:1], v[4:5]
	v_fma_f64 v[24:25], v[24:25], s[0:1], v[0:1]
	v_add_f64 v[0:1], v[26:27], v[118:119]
	v_add_f64 v[88:89], v[88:89], v[110:111]
	;; [unrolled: 1-line block ×6, first 2 shown]
	v_fma_f64 v[0:1], v[0:1], -0.5, v[26:27]
	v_fma_f64 v[4:5], v[2:3], s[14:15], v[0:1]
	v_fma_f64 v[0:1], v[2:3], s[12:13], v[0:1]
	;; [unrolled: 1-line block ×6, first 2 shown]
	v_add_f64 v[0:1], v[118:119], v[124:125]
	v_add_f64 v[88:89], v[122:123], -v[124:125]
	v_add_f64 v[122:123], v[142:143], -v[140:141]
	v_fma_f64 v[0:1], v[0:1], -0.5, v[26:27]
	v_add_f64 v[26:27], v[120:121], -v[118:119]
	v_fma_f64 v[4:5], v[6:7], s[12:13], v[0:1]
	v_fma_f64 v[0:1], v[6:7], s[14:15], v[0:1]
	v_add_f64 v[26:27], v[26:27], v[88:89]
	v_add_f64 v[6:7], v[132:133], -v[134:135]
	v_add_f64 v[88:89], v[126:127], -v[138:139]
	v_fma_f64 v[4:5], v[2:3], s[16:17], v[4:5]
	v_fma_f64 v[0:1], v[2:3], s[6:7], v[0:1]
	v_add_f64 v[2:3], v[92:93], -v[136:137]
	v_add_f64 v[88:89], v[88:89], v[122:123]
	v_add_f64 v[122:123], v[140:141], -v[142:143]
	v_fma_f64 v[118:119], v[26:27], s[0:1], v[4:5]
	v_fma_f64 v[26:27], v[26:27], s[0:1], v[0:1]
	v_add_f64 v[0:1], v[16:17], v[126:127]
	v_add_f64 v[0:1], v[0:1], v[138:139]
	;; [unrolled: 1-line block ×5, first 2 shown]
	v_fma_f64 v[0:1], v[0:1], -0.5, v[16:17]
	v_fma_f64 v[4:5], v[2:3], s[12:13], v[0:1]
	v_fma_f64 v[0:1], v[2:3], s[14:15], v[0:1]
	;; [unrolled: 1-line block ×5, first 2 shown]
	v_add_f64 v[4:5], v[126:127], v[142:143]
	v_fma_f64 v[0:1], v[88:89], s[0:1], v[0:1]
	v_add_f64 v[88:89], v[138:139], -v[126:127]
	v_fma_f64 v[4:5], v[4:5], -0.5, v[16:17]
	v_add_f64 v[88:89], v[88:89], v[122:123]
	v_fma_f64 v[16:17], v[6:7], s[14:15], v[4:5]
	v_fma_f64 v[4:5], v[6:7], s[12:13], v[4:5]
	;; [unrolled: 1-line block ×4, first 2 shown]
	v_add_f64 v[4:5], v[126:127], -v[142:143]
	v_add_f64 v[126:127], v[136:137], -v[134:135]
	v_fma_f64 v[144:145], v[88:89], s[0:1], v[16:17]
	v_fma_f64 v[148:149], v[88:89], s[0:1], v[2:3]
	v_add_f64 v[2:3], v[18:19], v[92:93]
	v_add_f64 v[16:17], v[138:139], -v[140:141]
	v_add_f64 v[88:89], v[92:93], -v[132:133]
	v_add_f64 v[2:3], v[2:3], v[132:133]
	v_add_f64 v[88:89], v[88:89], v[126:127]
	;; [unrolled: 1-line block ×5, first 2 shown]
	v_fma_f64 v[2:3], v[2:3], -0.5, v[18:19]
	v_fma_f64 v[6:7], v[4:5], s[14:15], v[2:3]
	v_fma_f64 v[2:3], v[4:5], s[12:13], v[2:3]
	;; [unrolled: 1-line block ×5, first 2 shown]
	v_add_f64 v[6:7], v[92:93], v[136:137]
	v_fma_f64 v[2:3], v[88:89], s[0:1], v[2:3]
	v_add_f64 v[88:89], v[132:133], -v[92:93]
	v_add_f64 v[92:93], v[134:135], -v[136:137]
	v_add_f64 v[132:133], v[130:131], -v[128:129]
	v_add_f64 v[134:135], v[128:129], -v[130:131]
	v_fma_f64 v[6:7], v[6:7], -0.5, v[18:19]
	v_add_f64 v[88:89], v[88:89], v[92:93]
	v_add_f64 v[92:93], v[30:31], -v[72:73]
	v_fma_f64 v[18:19], v[16:17], s[12:13], v[6:7]
	v_fma_f64 v[6:7], v[16:17], s[14:15], v[6:7]
	;; [unrolled: 1-line block ×4, first 2 shown]
	v_add_f64 v[6:7], v[94:95], v[128:129]
	v_fma_f64 v[146:147], v[88:89], s[0:1], v[18:19]
	v_add_f64 v[18:19], v[28:29], -v[74:75]
	v_fma_f64 v[6:7], v[6:7], -0.5, v[8:9]
	v_fma_f64 v[150:151], v[88:89], s[0:1], v[4:5]
	v_add_f64 v[88:89], v[90:91], -v[94:95]
	v_add_f64 v[4:5], v[8:9], v[90:91]
	v_fma_f64 v[16:17], v[18:19], s[12:13], v[6:7]
	v_fma_f64 v[6:7], v[18:19], s[14:15], v[6:7]
	v_add_f64 v[88:89], v[88:89], v[132:133]
	v_add_f64 v[4:5], v[4:5], v[94:95]
	v_add_f64 v[132:133], v[94:95], -v[90:91]
	v_add_f64 v[94:95], v[94:95], -v[128:129]
	v_fma_f64 v[16:17], v[92:93], s[6:7], v[16:17]
	v_fma_f64 v[6:7], v[92:93], s[16:17], v[6:7]
	v_add_f64 v[4:5], v[4:5], v[128:129]
	v_add_f64 v[132:133], v[132:133], v[134:135]
	v_add_f64 v[128:129], v[74:75], -v[72:73]
	v_fma_f64 v[16:17], v[88:89], s[0:1], v[16:17]
	v_fma_f64 v[88:89], v[88:89], s[0:1], v[6:7]
	v_add_f64 v[6:7], v[90:91], v[130:131]
	v_add_f64 v[4:5], v[4:5], v[130:131]
	v_add_f64 v[130:131], v[90:91], -v[130:131]
	v_add_f64 v[90:91], v[28:29], -v[30:31]
	v_fma_f64 v[6:7], v[6:7], -0.5, v[8:9]
	v_add_f64 v[90:91], v[90:91], v[128:129]
	v_fma_f64 v[8:9], v[92:93], s[14:15], v[6:7]
	v_fma_f64 v[6:7], v[92:93], s[12:13], v[6:7]
	;; [unrolled: 1-line block ×4, first 2 shown]
	v_add_f64 v[18:19], v[30:31], v[72:73]
	v_fma_f64 v[8:9], v[132:133], s[0:1], v[8:9]
	v_fma_f64 v[92:93], v[132:133], s[0:1], v[6:7]
	v_fma_f64 v[132:133], v[18:19], -0.5, v[10:11]
	v_add_f64 v[6:7], v[10:11], v[28:29]
	v_fma_f64 v[18:19], v[130:131], s[14:15], v[132:133]
	v_fma_f64 v[128:129], v[130:131], s[12:13], v[132:133]
	v_add_f64 v[6:7], v[6:7], v[30:31]
	v_fma_f64 v[18:19], v[94:95], s[16:17], v[18:19]
	v_fma_f64 v[128:129], v[94:95], s[6:7], v[128:129]
	;; [unrolled: 3-line block ×3, first 2 shown]
	v_add_f64 v[128:129], v[28:29], v[74:75]
	v_add_f64 v[28:29], v[30:31], -v[28:29]
	v_add_f64 v[30:31], v[72:73], -v[74:75]
	v_add_f64 v[6:7], v[6:7], v[74:75]
	v_fma_f64 v[128:129], v[128:129], -0.5, v[10:11]
	v_add_f64 v[28:29], v[28:29], v[30:31]
	v_fma_f64 v[10:11], v[94:95], s[12:13], v[128:129]
	v_fma_f64 v[30:31], v[94:95], s[14:15], v[128:129]
	;; [unrolled: 1-line block ×6, first 2 shown]
	buffer_load_dword v28, off, s[36:39], 0 offset:884 ; 4-byte Folded Reload
	s_waitcnt vmcnt(0)
	ds_write_b128 v28, v[12:15]
	ds_write_b128 v28, v[84:87] offset:576
	ds_write_b128 v28, v[100:103] offset:1152
	ds_write_b128 v28, v[96:99] offset:1728
	ds_write_b128 v28, v[80:83] offset:2304
	buffer_load_dword v12, off, s[36:39], 0 offset:888 ; 4-byte Folded Reload
	s_waitcnt vmcnt(0)
	ds_write_b128 v12, v[104:107]
	ds_write_b128 v12, v[112:115] offset:576
	ds_write_b128 v12, v[116:119] offset:1152
	ds_write_b128 v12, v[24:27] offset:1728
	ds_write_b128 v12, v[108:111] offset:2304
	;; [unrolled: 7-line block ×4, first 2 shown]
	s_waitcnt lgkmcnt(0)
	; wave barrier
	s_waitcnt lgkmcnt(0)
	ds_read_b128 v[80:83], v156
	ds_read_b128 v[124:127], v156 offset:2880
	ds_read_b128 v[120:123], v156 offset:5760
	;; [unrolled: 1-line block ×13, first 2 shown]
	s_and_saveexec_b64 s[0:1], s[2:3]
	s_cbranch_execz .LBB0_23
; %bb.22:
	ds_read_b128 v[0:3], v156 offset:2016
	ds_read_b128 v[4:7], v156 offset:4896
	ds_read_b128 v[16:19], v156 offset:7776
	ds_read_b128 v[8:11], v156 offset:10656
	ds_read_b128 v[92:95], v156 offset:13536
	ds_read_b128 v[88:91], v156 offset:16416
	ds_read_b128 v[76:79], v156 offset:19296
.LBB0_23:
	s_or_b64 exec, exec, s[0:1]
	s_waitcnt lgkmcnt(12)
	v_mul_f64 v[128:129], v[46:47], v[126:127]
	v_mul_f64 v[46:47], v[46:47], v[124:125]
	s_waitcnt lgkmcnt(11)
	v_mul_f64 v[130:131], v[38:39], v[122:123]
	v_mul_f64 v[38:39], v[38:39], v[120:121]
	;; [unrolled: 3-line block ×3, first 2 shown]
	s_mov_b32 s14, 0x37e14327
	s_mov_b32 s6, 0x36b3c0b5
	v_fma_f64 v[124:125], v[44:45], v[124:125], v[128:129]
	v_fma_f64 v[44:45], v[44:45], v[126:127], -v[46:47]
	v_fma_f64 v[46:47], v[36:37], v[120:121], v[130:131]
	v_fma_f64 v[36:37], v[36:37], v[122:123], -v[38:39]
	;; [unrolled: 2-line block ×3, first 2 shown]
	s_waitcnt lgkmcnt(9)
	v_mul_f64 v[34:35], v[22:23], v[110:111]
	v_mul_f64 v[22:23], v[22:23], v[108:109]
	s_waitcnt lgkmcnt(8)
	v_mul_f64 v[116:117], v[62:63], v[106:107]
	v_mul_f64 v[62:63], v[62:63], v[104:105]
	;; [unrolled: 3-line block ×4, first 2 shown]
	v_fma_f64 v[34:35], v[20:21], v[108:109], v[34:35]
	v_fma_f64 v[20:21], v[20:21], v[110:111], -v[22:23]
	v_fma_f64 v[22:23], v[60:61], v[104:105], v[116:117]
	v_fma_f64 v[60:61], v[60:61], v[106:107], -v[62:63]
	;; [unrolled: 2-line block ×4, first 2 shown]
	s_waitcnt lgkmcnt(4)
	v_mul_f64 v[70:71], v[54:55], v[30:31]
	v_mul_f64 v[54:55], v[54:55], v[28:29]
	s_waitcnt lgkmcnt(3)
	v_mul_f64 v[100:101], v[50:51], v[74:75]
	v_mul_f64 v[50:51], v[50:51], v[72:73]
	;; [unrolled: 3-line block ×4, first 2 shown]
	v_fma_f64 v[70:71], v[52:53], v[28:29], v[70:71]
	v_fma_f64 v[52:53], v[52:53], v[30:31], -v[54:55]
	v_fma_f64 v[54:55], v[48:49], v[72:73], v[100:101]
	v_fma_f64 v[48:49], v[48:49], v[74:75], -v[50:51]
	v_fma_f64 v[50:51], v[40:41], v[84:85], v[102:103]
	v_fma_f64 v[72:73], v[40:41], v[86:87], -v[42:43]
	v_fma_f64 v[74:75], v[64:65], v[96:97], v[104:105]
	v_fma_f64 v[64:65], v[64:65], v[98:99], -v[66:67]
	v_add_f64 v[40:41], v[124:125], v[62:63]
	v_add_f64 v[42:43], v[44:45], v[56:57]
	v_add_f64 v[44:45], v[44:45], -v[56:57]
	v_add_f64 v[56:57], v[46:47], v[22:23]
	v_add_f64 v[66:67], v[36:37], v[60:61]
	v_add_f64 v[22:23], v[46:47], -v[22:23]
	v_add_f64 v[36:37], v[36:37], -v[60:61]
	v_add_f64 v[46:47], v[38:39], v[34:35]
	v_add_f64 v[60:61], v[32:33], v[20:21]
	v_add_f64 v[34:35], v[34:35], -v[38:39]
	;; [unrolled: 4-line block ×3, first 2 shown]
	v_add_f64 v[84:85], v[56:57], -v[40:41]
	v_add_f64 v[86:87], v[66:67], -v[42:43]
	v_add_f64 v[40:41], v[40:41], -v[46:47]
	v_add_f64 v[42:43], v[42:43], -v[60:61]
	v_add_f64 v[66:67], v[60:61], -v[66:67]
	v_add_f64 v[96:97], v[34:35], v[22:23]
	v_add_f64 v[98:99], v[20:21], v[36:37]
	v_add_f64 v[100:101], v[34:35], -v[22:23]
	v_add_f64 v[102:103], v[20:21], -v[36:37]
	v_add_f64 v[32:33], v[46:47], v[32:33]
	v_add_f64 v[38:39], v[60:61], v[38:39]
	v_add_f64 v[36:37], v[36:37], -v[44:45]
	s_mov_b32 s16, 0xe976ee23
	s_mov_b32 s0, 0x429ad128
	;; [unrolled: 1-line block ×6, first 2 shown]
	v_add_f64 v[56:57], v[46:47], -v[56:57]
	v_add_f64 v[34:35], v[62:63], -v[34:35]
	;; [unrolled: 1-line block ×4, first 2 shown]
	v_add_f64 v[62:63], v[96:97], v[62:63]
	v_add_f64 v[44:45], v[98:99], v[44:45]
	;; [unrolled: 1-line block ×4, first 2 shown]
	v_mul_f64 v[40:41], v[40:41], s[14:15]
	v_mul_f64 v[42:43], v[42:43], s[14:15]
	;; [unrolled: 1-line block ×6, first 2 shown]
	s_mov_b32 s24, 0xaaaaaaaa
	s_mov_b32 s12, 0x5476071b
	;; [unrolled: 1-line block ×10, first 2 shown]
	s_waitcnt lgkmcnt(0)
	v_mul_f64 v[28:29], v[242:243], v[26:27]
	v_mul_f64 v[30:31], v[242:243], v[24:25]
	;; [unrolled: 1-line block ×4, first 2 shown]
	v_fma_f64 v[32:33], v[32:33], s[24:25], v[20:21]
	v_fma_f64 v[38:39], v[38:39], s[24:25], v[22:23]
	v_fma_f64 v[56:57], v[56:57], s[6:7], v[40:41]
	v_fma_f64 v[66:67], v[66:67], s[6:7], v[42:43]
	v_fma_f64 v[82:83], v[86:87], s[12:13], -v[82:83]
	v_fma_f64 v[40:41], v[84:85], s[18:19], -v[40:41]
	;; [unrolled: 1-line block ×3, first 2 shown]
	v_fma_f64 v[86:87], v[46:47], s[26:27], v[98:99]
	v_fma_f64 v[60:61], v[60:61], s[0:1], -v[96:97]
	v_fma_f64 v[36:37], v[36:37], s[0:1], -v[98:99]
	;; [unrolled: 1-line block ×3, first 2 shown]
	s_mov_b32 s20, 0x37c3f68c
	s_mov_b32 s21, 0xbfdc38aa
	v_fma_f64 v[80:81], v[84:85], s[12:13], -v[80:81]
	v_fma_f64 v[84:85], v[34:35], s[26:27], v[96:97]
	v_fma_f64 v[34:35], v[34:35], s[22:23], -v[100:101]
	v_add_f64 v[66:67], v[66:67], v[38:39]
	v_add_f64 v[82:83], v[82:83], v[38:39]
	v_add_f64 v[40:41], v[40:41], v[32:33]
	v_add_f64 v[42:43], v[42:43], v[38:39]
	v_fma_f64 v[86:87], v[44:45], s[20:21], v[86:87]
	v_fma_f64 v[46:47], v[44:45], s[20:21], v[46:47]
	;; [unrolled: 1-line block ×5, first 2 shown]
	v_fma_f64 v[60:61], v[240:241], v[26:27], -v[30:31]
	v_fma_f64 v[84:85], v[62:63], s[20:21], v[84:85]
	v_fma_f64 v[96:97], v[62:63], s[20:21], v[34:35]
	v_add_f64 v[80:81], v[80:81], v[32:33]
	v_add_f64 v[28:29], v[46:47], v[40:41]
	v_add_f64 v[40:41], v[40:41], -v[46:47]
	v_add_f64 v[56:57], v[56:57], v[32:33]
	v_add_f64 v[46:47], v[58:59], v[44:45]
	;; [unrolled: 1-line block ×3, first 2 shown]
	v_add_f64 v[44:45], v[58:59], -v[44:45]
	v_add_f64 v[58:59], v[68:69], -v[60:61]
	v_add_f64 v[60:61], v[70:71], v[74:75]
	v_add_f64 v[68:69], v[52:53], v[64:65]
	v_add_f64 v[70:71], v[70:71], -v[74:75]
	v_add_f64 v[52:53], v[52:53], -v[64:65]
	v_add_f64 v[64:65], v[54:55], v[50:51]
	v_add_f64 v[74:75], v[48:49], v[72:73]
	;; [unrolled: 4-line block ×4, first 2 shown]
	v_add_f64 v[38:39], v[82:83], -v[38:39]
	v_add_f64 v[42:43], v[96:97], v[42:43]
	v_add_f64 v[80:81], v[60:61], -v[46:47]
	v_add_f64 v[82:83], v[68:69], -v[62:63]
	;; [unrolled: 1-line block ×6, first 2 shown]
	v_add_f64 v[96:97], v[50:51], v[70:71]
	v_add_f64 v[98:99], v[48:49], v[52:53]
	v_add_f64 v[100:101], v[50:51], -v[70:71]
	v_add_f64 v[102:103], v[48:49], -v[52:53]
	v_add_f64 v[54:55], v[64:65], v[54:55]
	v_add_f64 v[64:65], v[74:75], v[72:73]
	v_add_f64 v[70:71], v[70:71], -v[44:45]
	v_add_f64 v[52:53], v[52:53], -v[58:59]
	;; [unrolled: 1-line block ×4, first 2 shown]
	v_add_f64 v[44:45], v[96:97], v[44:45]
	v_add_f64 v[58:59], v[98:99], v[58:59]
	;; [unrolled: 1-line block ×4, first 2 shown]
	v_mul_f64 v[46:47], v[46:47], s[14:15]
	v_mul_f64 v[62:63], v[62:63], s[14:15]
	;; [unrolled: 1-line block ×8, first 2 shown]
	v_fma_f64 v[54:55], v[54:55], s[24:25], v[12:13]
	v_fma_f64 v[64:65], v[64:65], s[24:25], v[14:15]
	;; [unrolled: 1-line block ×4, first 2 shown]
	v_fma_f64 v[72:73], v[80:81], s[12:13], -v[72:73]
	v_fma_f64 v[74:75], v[82:83], s[12:13], -v[74:75]
	;; [unrolled: 1-line block ×4, first 2 shown]
	v_fma_f64 v[80:81], v[50:51], s[26:27], v[96:97]
	v_fma_f64 v[82:83], v[48:49], s[26:27], v[98:99]
	v_fma_f64 v[70:71], v[70:71], s[0:1], -v[96:97]
	v_fma_f64 v[52:53], v[52:53], s[0:1], -v[98:99]
	;; [unrolled: 1-line block ×4, first 2 shown]
	v_add_f64 v[96:97], v[60:61], v[54:55]
	v_add_f64 v[98:99], v[68:69], v[64:65]
	;; [unrolled: 1-line block ×6, first 2 shown]
	v_fma_f64 v[82:83], v[58:59], s[20:21], v[82:83]
	v_fma_f64 v[80:81], v[44:45], s[20:21], v[80:81]
	;; [unrolled: 1-line block ×6, first 2 shown]
	v_add_f64 v[24:25], v[86:87], v[56:57]
	v_add_f64 v[26:27], v[66:67], -v[84:85]
	v_add_f64 v[44:45], v[56:57], -v[86:87]
	v_add_f64 v[46:47], v[84:85], v[66:67]
	v_add_f64 v[48:49], v[82:83], v[96:97]
	v_add_f64 v[50:51], v[98:99], -v[80:81]
	v_add_f64 v[52:53], v[64:65], v[72:73]
	v_add_f64 v[54:55], v[74:75], -v[100:101]
	v_add_f64 v[56:57], v[60:61], -v[62:63]
	v_add_f64 v[58:59], v[70:71], v[68:69]
	v_add_f64 v[60:61], v[62:63], v[60:61]
	v_add_f64 v[62:63], v[68:69], -v[70:71]
	v_add_f64 v[64:65], v[72:73], -v[64:65]
	v_add_f64 v[66:67], v[100:101], v[74:75]
	v_add_f64 v[68:69], v[96:97], -v[82:83]
	v_add_f64 v[70:71], v[80:81], v[98:99]
	ds_write_b128 v156, v[20:23]
	ds_write_b128 v156, v[24:27] offset:2880
	ds_write_b128 v156, v[28:31] offset:5760
	;; [unrolled: 1-line block ×13, first 2 shown]
	s_and_saveexec_b64 s[28:29], s[2:3]
	s_cbranch_execz .LBB0_25
; %bb.24:
	buffer_load_dword v36, off, s[36:39], 0 offset:908 ; 4-byte Folded Reload
	buffer_load_dword v37, off, s[36:39], 0 offset:912 ; 4-byte Folded Reload
	;; [unrolled: 1-line block ×16, first 2 shown]
	s_waitcnt vmcnt(12)
	v_mul_f64 v[12:13], v[38:39], v[94:95]
	s_waitcnt vmcnt(8)
	v_mul_f64 v[14:15], v[42:43], v[10:11]
	;; [unrolled: 2-line block ×4, first 2 shown]
	v_mul_f64 v[24:25], v[54:55], v[76:77]
	buffer_load_dword v54, off, s[36:39], 0 offset:988 ; 4-byte Folded Reload
	buffer_load_dword v55, off, s[36:39], 0 offset:992 ; 4-byte Folded Reload
	;; [unrolled: 1-line block ×8, first 2 shown]
	v_mul_f64 v[20:21], v[50:51], v[6:7]
	v_fma_f64 v[12:13], v[36:37], v[92:93], v[12:13]
	v_fma_f64 v[14:15], v[40:41], v[8:9], v[14:15]
	v_fma_f64 v[6:7], v[48:49], v[6:7], -v[26:27]
	v_mul_f64 v[8:9], v[42:43], v[8:9]
	v_fma_f64 v[24:25], v[52:53], v[78:79], -v[24:25]
	v_mul_f64 v[26:27], v[38:39], v[92:93]
	v_fma_f64 v[4:5], v[48:49], v[4:5], v[20:21]
	v_fma_f64 v[20:21], v[52:53], v[76:77], v[22:23]
	v_fma_f64 v[8:9], v[40:41], v[10:11], -v[8:9]
	v_add_f64 v[22:23], v[6:7], v[24:25]
	v_fma_f64 v[10:11], v[36:37], v[94:95], -v[26:27]
	v_add_f64 v[40:41], v[4:5], -v[20:21]
	v_add_f64 v[4:5], v[4:5], v[20:21]
	v_add_f64 v[36:37], v[8:9], v[10:11]
	v_add_f64 v[8:9], v[10:11], -v[8:9]
	v_add_f64 v[20:21], v[22:23], -v[36:37]
	s_waitcnt vmcnt(4)
	v_mul_f64 v[28:29], v[56:57], v[88:89]
	s_waitcnt vmcnt(0)
	v_mul_f64 v[30:31], v[46:47], v[16:17]
	v_mul_f64 v[32:33], v[46:47], v[18:19]
	;; [unrolled: 1-line block ×3, first 2 shown]
	v_fma_f64 v[28:29], v[54:55], v[90:91], -v[28:29]
	v_fma_f64 v[18:19], v[44:45], v[18:19], -v[30:31]
	v_fma_f64 v[16:17], v[44:45], v[16:17], v[32:33]
	v_fma_f64 v[30:31], v[54:55], v[88:89], v[34:35]
	v_add_f64 v[32:33], v[12:13], -v[14:15]
	v_add_f64 v[12:13], v[14:15], v[12:13]
	v_mul_f64 v[14:15], v[20:21], s[14:15]
	v_add_f64 v[26:27], v[18:19], v[28:29]
	v_add_f64 v[10:11], v[18:19], -v[28:29]
	v_add_f64 v[34:35], v[16:17], -v[30:31]
	v_add_f64 v[16:17], v[16:17], v[30:31]
	v_add_f64 v[18:19], v[6:7], -v[24:25]
	v_add_f64 v[6:7], v[4:5], -v[12:13]
	;; [unrolled: 3-line block ×4, first 2 shown]
	v_add_f64 v[48:49], v[10:11], -v[18:19]
	v_mul_f64 v[26:27], v[6:7], s[14:15]
	v_add_f64 v[30:31], v[36:37], v[38:39]
	v_add_f64 v[38:39], v[40:41], -v[32:33]
	v_mul_f64 v[42:43], v[42:43], s[16:17]
	v_add_f64 v[32:33], v[32:33], v[34:35]
	v_add_f64 v[36:37], v[12:13], v[44:45]
	v_fma_f64 v[46:47], v[20:21], s[6:7], v[14:15]
	v_add_f64 v[12:13], v[12:13], -v[16:17]
	v_mul_f64 v[20:21], v[20:21], s[6:7]
	v_add_f64 v[2:3], v[2:3], v[30:31]
	v_fma_f64 v[14:15], v[22:23], s[18:19], -v[14:15]
	v_fma_f64 v[44:45], v[38:39], s[26:27], v[42:43]
	v_add_f64 v[32:33], v[32:33], v[40:41]
	v_add_f64 v[40:41], v[8:9], -v[10:11]
	v_add_f64 v[0:1], v[0:1], v[36:37]
	v_add_f64 v[4:5], v[16:17], -v[4:5]
	v_mul_f64 v[16:17], v[48:49], s[0:1]
	v_fma_f64 v[30:31], v[30:31], s[24:25], v[2:3]
	v_fma_f64 v[28:29], v[32:33], s[20:21], v[44:45]
	v_mul_f64 v[44:45], v[24:25], s[0:1]
	v_mul_f64 v[40:41], v[40:41], s[16:17]
	v_fma_f64 v[36:37], v[36:37], s[24:25], v[0:1]
	v_add_f64 v[34:35], v[46:47], v[30:31]
	v_add_f64 v[46:47], v[18:19], -v[8:9]
	v_add_f64 v[8:9], v[8:9], v[10:11]
	v_mul_f64 v[10:11], v[12:13], s[6:7]
	v_fma_f64 v[12:13], v[12:13], s[6:7], v[26:27]
	v_fma_f64 v[38:39], v[38:39], s[22:23], -v[44:45]
	v_add_f64 v[6:7], v[28:29], v[34:35]
	v_fma_f64 v[44:45], v[46:47], s[26:27], v[40:41]
	v_add_f64 v[8:9], v[8:9], v[18:19]
	v_fma_f64 v[18:19], v[22:23], s[12:13], -v[20:21]
	v_fma_f64 v[20:21], v[24:25], s[0:1], -v[42:43]
	v_add_f64 v[24:25], v[14:15], v[30:31]
	v_fma_f64 v[14:15], v[4:5], s[18:19], -v[26:27]
	v_fma_f64 v[16:17], v[46:47], s[22:23], -v[16:17]
	;; [unrolled: 1-line block ×4, first 2 shown]
	v_fma_f64 v[22:23], v[32:33], s[20:21], v[38:39]
	v_add_f64 v[18:19], v[18:19], v[30:31]
	v_fma_f64 v[20:21], v[32:33], s[20:21], v[20:21]
	v_add_f64 v[30:31], v[12:13], v[36:37]
	;; [unrolled: 2-line block ×5, first 2 shown]
	v_add_f64 v[22:23], v[24:25], -v[22:23]
	v_add_f64 v[26:27], v[34:35], -v[28:29]
	v_add_f64 v[24:25], v[32:33], v[30:31]
	v_add_f64 v[14:15], v[18:19], -v[20:21]
	v_add_f64 v[18:19], v[20:21], v[18:19]
	v_add_f64 v[20:21], v[40:41], v[38:39]
	v_add_f64 v[16:17], v[4:5], -v[8:9]
	v_add_f64 v[12:13], v[8:9], v[4:5]
	v_add_f64 v[8:9], v[38:39], -v[40:41]
	v_add_f64 v[4:5], v[30:31], -v[32:33]
	ds_write_b128 v156, v[0:3] offset:2016
	ds_write_b128 v156, v[24:27] offset:4896
	;; [unrolled: 1-line block ×7, first 2 shown]
.LBB0_25:
	s_or_b64 exec, exec, s[28:29]
	s_waitcnt lgkmcnt(0)
	; wave barrier
	s_waitcnt lgkmcnt(0)
	ds_read_b128 v[0:3], v156
	ds_read_b128 v[4:7], v156 offset:1008
	buffer_load_dword v18, off, s[36:39], 0 offset:120 ; 4-byte Folded Reload
	buffer_load_dword v19, off, s[36:39], 0 offset:124 ; 4-byte Folded Reload
	;; [unrolled: 1-line block ×4, first 2 shown]
	buffer_load_dword v12, off, s[36:39], 0 ; 4-byte Folded Reload
	buffer_load_dword v13, off, s[36:39], 0 offset:4 ; 4-byte Folded Reload
	v_mad_u64_u32 v[16:17], s[2:3], s8, v187, 0
	v_mov_b32_e32 v24, s5
	s_mul_hi_u32 s5, s8, 0xffffdc90
	s_sub_i32 s5, s5, s8
	s_waitcnt vmcnt(2) lgkmcnt(1)
	v_mul_f64 v[8:9], v[20:21], v[2:3]
	v_mul_f64 v[10:11], v[20:21], v[0:1]
	s_waitcnt vmcnt(1)
	v_mov_b32_e32 v14, v12
	s_waitcnt vmcnt(0)
	v_mad_u64_u32 v[12:13], s[0:1], s10, v14, 0
	s_mov_b32 s0, 0x1a01a01a
	s_mov_b32 s1, 0x3f4a01a0
	v_fma_f64 v[0:1], v[18:19], v[0:1], v[8:9]
	v_mad_u64_u32 v[8:9], s[2:3], s11, v14, v[13:14]
	v_mov_b32_e32 v9, v17
	v_mad_u64_u32 v[14:15], s[2:3], s9, v187, v[9:10]
	v_mov_b32_e32 v13, v8
	v_fma_f64 v[2:3], v[18:19], v[2:3], -v[10:11]
	ds_read_b128 v[8:11], v156 offset:10080
	v_mov_b32_e32 v17, v14
	v_lshlrev_b64 v[18:19], 4, v[12:13]
	ds_read_b128 v[12:15], v156 offset:11088
	buffer_load_dword v25, off, s[36:39], 0 offset:40 ; 4-byte Folded Reload
	buffer_load_dword v26, off, s[36:39], 0 offset:44 ; 4-byte Folded Reload
	;; [unrolled: 1-line block ×4, first 2 shown]
	v_mul_f64 v[0:1], v[0:1], s[0:1]
	v_add_co_u32_e32 v18, vcc, s4, v18
	v_mul_f64 v[2:3], v[2:3], s[0:1]
	v_lshlrev_b64 v[16:17], 4, v[16:17]
	v_addc_co_u32_e32 v19, vcc, v24, v19, vcc
	v_add_co_u32_e32 v16, vcc, v18, v16
	v_addc_co_u32_e32 v17, vcc, v19, v17, vcc
	global_store_dwordx4 v[16:17], v[0:3], off
	s_mul_i32 s2, s9, 0x2760
	s_mul_hi_u32 s3, s8, 0x2760
	s_add_i32 s2, s3, s2
	s_mul_i32 s3, s8, 0x2760
	v_add_co_u32_e32 v16, vcc, s3, v16
	s_mul_i32 s4, s9, 0xffffdc90
	s_add_i32 s5, s5, s4
	s_mul_i32 s4, s8, 0xffffdc90
	s_waitcnt vmcnt(1) lgkmcnt(1)
	v_mul_f64 v[20:21], v[27:28], v[10:11]
	v_mul_f64 v[22:23], v[27:28], v[8:9]
	v_fma_f64 v[8:9], v[25:26], v[8:9], v[20:21]
	v_fma_f64 v[10:11], v[25:26], v[10:11], -v[22:23]
	buffer_load_dword v22, off, s[36:39], 0 offset:104 ; 4-byte Folded Reload
	buffer_load_dword v23, off, s[36:39], 0 offset:108 ; 4-byte Folded Reload
	;; [unrolled: 1-line block ×4, first 2 shown]
	v_mul_f64 v[0:1], v[8:9], s[0:1]
	v_mul_f64 v[2:3], v[10:11], s[0:1]
	v_mov_b32_e32 v8, s2
	v_addc_co_u32_e32 v17, vcc, v17, v8, vcc
	global_store_dwordx4 v[16:17], v[0:3], off
	v_add_co_u32_e32 v16, vcc, s4, v16
	s_waitcnt vmcnt(1)
	v_mul_f64 v[18:19], v[24:25], v[6:7]
	v_mul_f64 v[20:21], v[24:25], v[4:5]
	v_fma_f64 v[4:5], v[22:23], v[4:5], v[18:19]
	v_fma_f64 v[6:7], v[22:23], v[6:7], -v[20:21]
	buffer_load_dword v18, off, s[36:39], 0 offset:88 ; 4-byte Folded Reload
	buffer_load_dword v19, off, s[36:39], 0 offset:92 ; 4-byte Folded Reload
	;; [unrolled: 1-line block ×4, first 2 shown]
	v_mov_b32_e32 v22, s5
	v_addc_co_u32_e32 v17, vcc, v17, v22, vcc
	v_mul_f64 v[0:1], v[4:5], s[0:1]
	v_mul_f64 v[2:3], v[6:7], s[0:1]
	ds_read_b128 v[4:7], v156 offset:2016
	s_waitcnt vmcnt(0) lgkmcnt(1)
	v_mul_f64 v[8:9], v[20:21], v[14:15]
	v_mul_f64 v[10:11], v[20:21], v[12:13]
	v_fma_f64 v[12:13], v[18:19], v[12:13], v[8:9]
	v_fma_f64 v[14:15], v[18:19], v[14:15], -v[10:11]
	ds_read_b128 v[8:11], v156 offset:3024
	buffer_load_dword v23, off, s[36:39], 0 offset:56 ; 4-byte Folded Reload
	buffer_load_dword v24, off, s[36:39], 0 offset:60 ; 4-byte Folded Reload
	buffer_load_dword v25, off, s[36:39], 0 offset:64 ; 4-byte Folded Reload
	buffer_load_dword v26, off, s[36:39], 0 offset:68 ; 4-byte Folded Reload
	s_waitcnt vmcnt(0) lgkmcnt(1)
	v_mul_f64 v[18:19], v[25:26], v[6:7]
	v_mul_f64 v[20:21], v[25:26], v[4:5]
	global_store_dwordx4 v[16:17], v[0:3], off
	v_mov_b32_e32 v26, s2
	v_mul_f64 v[0:1], v[12:13], s[0:1]
	v_mul_f64 v[2:3], v[14:15], s[0:1]
	ds_read_b128 v[12:15], v156 offset:12096
	v_add_co_u32_e32 v16, vcc, s3, v16
	v_fma_f64 v[18:19], v[23:24], v[4:5], v[18:19]
	v_fma_f64 v[20:21], v[23:24], v[6:7], -v[20:21]
	ds_read_b128 v[4:7], v156 offset:13104
	buffer_load_dword v27, off, s[36:39], 0 offset:24 ; 4-byte Folded Reload
	buffer_load_dword v28, off, s[36:39], 0 offset:28 ; 4-byte Folded Reload
	;; [unrolled: 1-line block ×4, first 2 shown]
	v_addc_co_u32_e32 v17, vcc, v17, v26, vcc
	global_store_dwordx4 v[16:17], v[0:3], off
	v_mov_b32_e32 v26, s5
	v_mul_f64 v[0:1], v[18:19], s[0:1]
	v_mul_f64 v[2:3], v[20:21], s[0:1]
	v_add_co_u32_e32 v16, vcc, s4, v16
	v_addc_co_u32_e32 v17, vcc, v17, v26, vcc
	s_waitcnt vmcnt(1) lgkmcnt(1)
	v_mul_f64 v[22:23], v[29:30], v[14:15]
	v_mul_f64 v[24:25], v[29:30], v[12:13]
	v_fma_f64 v[12:13], v[27:28], v[12:13], v[22:23]
	v_fma_f64 v[14:15], v[27:28], v[14:15], -v[24:25]
	buffer_load_dword v27, off, s[36:39], 0 offset:72 ; 4-byte Folded Reload
	buffer_load_dword v28, off, s[36:39], 0 offset:76 ; 4-byte Folded Reload
	buffer_load_dword v29, off, s[36:39], 0 offset:80 ; 4-byte Folded Reload
	buffer_load_dword v30, off, s[36:39], 0 offset:84 ; 4-byte Folded Reload
	v_mov_b32_e32 v22, s2
	global_store_dwordx4 v[16:17], v[0:3], off
	v_add_co_u32_e32 v16, vcc, s3, v16
	v_addc_co_u32_e32 v17, vcc, v17, v22, vcc
	v_mul_f64 v[0:1], v[12:13], s[0:1]
	v_mul_f64 v[2:3], v[14:15], s[0:1]
	v_mov_b32_e32 v22, s5
	s_waitcnt vmcnt(1)
	v_mul_f64 v[18:19], v[29:30], v[10:11]
	v_mul_f64 v[20:21], v[29:30], v[8:9]
	v_fma_f64 v[8:9], v[27:28], v[8:9], v[18:19]
	v_fma_f64 v[10:11], v[27:28], v[10:11], -v[20:21]
	buffer_load_dword v18, off, s[36:39], 0 offset:312 ; 4-byte Folded Reload
	buffer_load_dword v19, off, s[36:39], 0 offset:316 ; 4-byte Folded Reload
	;; [unrolled: 1-line block ×4, first 2 shown]
	s_waitcnt vmcnt(0) lgkmcnt(0)
	v_mul_f64 v[12:13], v[20:21], v[6:7]
	v_mul_f64 v[14:15], v[20:21], v[4:5]
	global_store_dwordx4 v[16:17], v[0:3], off
	v_add_co_u32_e32 v16, vcc, s4, v16
	v_mul_f64 v[0:1], v[8:9], s[0:1]
	v_mul_f64 v[2:3], v[10:11], s[0:1]
	ds_read_b128 v[8:11], v156 offset:4032
	v_fma_f64 v[12:13], v[18:19], v[4:5], v[12:13]
	v_fma_f64 v[14:15], v[18:19], v[6:7], -v[14:15]
	ds_read_b128 v[4:7], v156 offset:5040
	buffer_load_dword v23, off, s[36:39], 0 offset:296 ; 4-byte Folded Reload
	buffer_load_dword v24, off, s[36:39], 0 offset:300 ; 4-byte Folded Reload
	buffer_load_dword v25, off, s[36:39], 0 offset:304 ; 4-byte Folded Reload
	buffer_load_dword v26, off, s[36:39], 0 offset:308 ; 4-byte Folded Reload
	v_addc_co_u32_e32 v17, vcc, v17, v22, vcc
	global_store_dwordx4 v[16:17], v[0:3], off
	v_add_co_u32_e32 v16, vcc, s3, v16
	v_mul_f64 v[0:1], v[12:13], s[0:1]
	v_mul_f64 v[2:3], v[14:15], s[0:1]
	ds_read_b128 v[12:15], v156 offset:14112
	s_waitcnt vmcnt(1) lgkmcnt(2)
	v_mul_f64 v[18:19], v[25:26], v[10:11]
	v_mul_f64 v[20:21], v[25:26], v[8:9]
	v_mov_b32_e32 v26, s2
	v_addc_co_u32_e32 v17, vcc, v17, v26, vcc
	v_mov_b32_e32 v26, s5
	v_fma_f64 v[18:19], v[23:24], v[8:9], v[18:19]
	v_fma_f64 v[20:21], v[23:24], v[10:11], -v[20:21]
	ds_read_b128 v[8:11], v156 offset:15120
	buffer_load_dword v27, off, s[36:39], 0 offset:264 ; 4-byte Folded Reload
	buffer_load_dword v28, off, s[36:39], 0 offset:268 ; 4-byte Folded Reload
	;; [unrolled: 1-line block ×4, first 2 shown]
	s_waitcnt vmcnt(0) lgkmcnt(1)
	v_mul_f64 v[22:23], v[29:30], v[14:15]
	v_mul_f64 v[24:25], v[29:30], v[12:13]
	global_store_dwordx4 v[16:17], v[0:3], off
	v_add_co_u32_e32 v16, vcc, s4, v16
	v_mul_f64 v[0:1], v[18:19], s[0:1]
	v_mul_f64 v[2:3], v[20:21], s[0:1]
	v_addc_co_u32_e32 v17, vcc, v17, v26, vcc
	v_fma_f64 v[12:13], v[27:28], v[12:13], v[22:23]
	v_fma_f64 v[14:15], v[27:28], v[14:15], -v[24:25]
	buffer_load_dword v27, off, s[36:39], 0 offset:280 ; 4-byte Folded Reload
	buffer_load_dword v28, off, s[36:39], 0 offset:284 ; 4-byte Folded Reload
	;; [unrolled: 1-line block ×4, first 2 shown]
	v_mov_b32_e32 v22, s2
	global_store_dwordx4 v[16:17], v[0:3], off
	v_add_co_u32_e32 v16, vcc, s3, v16
	v_mul_f64 v[0:1], v[12:13], s[0:1]
	v_mul_f64 v[2:3], v[14:15], s[0:1]
	v_addc_co_u32_e32 v17, vcc, v17, v22, vcc
	v_mov_b32_e32 v22, s5
	s_waitcnt vmcnt(1)
	v_mul_f64 v[18:19], v[29:30], v[6:7]
	v_mul_f64 v[20:21], v[29:30], v[4:5]
	v_fma_f64 v[4:5], v[27:28], v[4:5], v[18:19]
	v_fma_f64 v[6:7], v[27:28], v[6:7], -v[20:21]
	buffer_load_dword v18, off, s[36:39], 0 offset:248 ; 4-byte Folded Reload
	buffer_load_dword v19, off, s[36:39], 0 offset:252 ; 4-byte Folded Reload
	;; [unrolled: 1-line block ×4, first 2 shown]
	s_waitcnt vmcnt(0) lgkmcnt(0)
	v_mul_f64 v[12:13], v[20:21], v[10:11]
	v_mul_f64 v[14:15], v[20:21], v[8:9]
	global_store_dwordx4 v[16:17], v[0:3], off
	v_add_co_u32_e32 v16, vcc, s4, v16
	v_mul_f64 v[0:1], v[4:5], s[0:1]
	v_mul_f64 v[2:3], v[6:7], s[0:1]
	ds_read_b128 v[4:7], v156 offset:6048
	v_fma_f64 v[12:13], v[18:19], v[8:9], v[12:13]
	v_fma_f64 v[14:15], v[18:19], v[10:11], -v[14:15]
	ds_read_b128 v[8:11], v156 offset:7056
	buffer_load_dword v23, off, s[36:39], 0 offset:232 ; 4-byte Folded Reload
	buffer_load_dword v24, off, s[36:39], 0 offset:236 ; 4-byte Folded Reload
	;; [unrolled: 1-line block ×4, first 2 shown]
	v_addc_co_u32_e32 v17, vcc, v17, v22, vcc
	global_store_dwordx4 v[16:17], v[0:3], off
	v_add_co_u32_e32 v16, vcc, s3, v16
	v_mul_f64 v[0:1], v[12:13], s[0:1]
	v_mul_f64 v[2:3], v[14:15], s[0:1]
	ds_read_b128 v[12:15], v156 offset:16128
	s_waitcnt vmcnt(1) lgkmcnt(2)
	v_mul_f64 v[18:19], v[25:26], v[6:7]
	v_mul_f64 v[20:21], v[25:26], v[4:5]
	v_mov_b32_e32 v26, s2
	v_addc_co_u32_e32 v17, vcc, v17, v26, vcc
	v_mov_b32_e32 v26, s5
	v_fma_f64 v[18:19], v[23:24], v[4:5], v[18:19]
	v_fma_f64 v[20:21], v[23:24], v[6:7], -v[20:21]
	ds_read_b128 v[4:7], v156 offset:17136
	buffer_load_dword v27, off, s[36:39], 0 offset:200 ; 4-byte Folded Reload
	buffer_load_dword v28, off, s[36:39], 0 offset:204 ; 4-byte Folded Reload
	buffer_load_dword v29, off, s[36:39], 0 offset:208 ; 4-byte Folded Reload
	buffer_load_dword v30, off, s[36:39], 0 offset:212 ; 4-byte Folded Reload
	s_waitcnt vmcnt(0) lgkmcnt(1)
	v_mul_f64 v[22:23], v[29:30], v[14:15]
	v_mul_f64 v[24:25], v[29:30], v[12:13]
	global_store_dwordx4 v[16:17], v[0:3], off
	v_add_co_u32_e32 v16, vcc, s4, v16
	v_mul_f64 v[0:1], v[18:19], s[0:1]
	v_mul_f64 v[2:3], v[20:21], s[0:1]
	v_addc_co_u32_e32 v17, vcc, v17, v26, vcc
	v_fma_f64 v[12:13], v[27:28], v[12:13], v[22:23]
	v_fma_f64 v[14:15], v[27:28], v[14:15], -v[24:25]
	buffer_load_dword v27, off, s[36:39], 0 offset:216 ; 4-byte Folded Reload
	buffer_load_dword v28, off, s[36:39], 0 offset:220 ; 4-byte Folded Reload
	;; [unrolled: 1-line block ×4, first 2 shown]
	v_mov_b32_e32 v22, s2
	global_store_dwordx4 v[16:17], v[0:3], off
	v_add_co_u32_e32 v16, vcc, s3, v16
	v_mul_f64 v[0:1], v[12:13], s[0:1]
	v_mul_f64 v[2:3], v[14:15], s[0:1]
	v_addc_co_u32_e32 v17, vcc, v17, v22, vcc
	v_mov_b32_e32 v22, s5
	s_waitcnt vmcnt(1)
	v_mul_f64 v[18:19], v[29:30], v[10:11]
	v_mul_f64 v[20:21], v[29:30], v[8:9]
	v_fma_f64 v[8:9], v[27:28], v[8:9], v[18:19]
	v_fma_f64 v[10:11], v[27:28], v[10:11], -v[20:21]
	buffer_load_dword v18, off, s[36:39], 0 offset:184 ; 4-byte Folded Reload
	buffer_load_dword v19, off, s[36:39], 0 offset:188 ; 4-byte Folded Reload
	;; [unrolled: 1-line block ×4, first 2 shown]
	s_waitcnt vmcnt(0) lgkmcnt(0)
	v_mul_f64 v[12:13], v[20:21], v[6:7]
	v_mul_f64 v[14:15], v[20:21], v[4:5]
	global_store_dwordx4 v[16:17], v[0:3], off
	v_add_co_u32_e32 v16, vcc, s4, v16
	v_mul_f64 v[0:1], v[8:9], s[0:1]
	v_mul_f64 v[2:3], v[10:11], s[0:1]
	ds_read_b128 v[8:11], v156 offset:8064
	v_fma_f64 v[12:13], v[18:19], v[4:5], v[12:13]
	v_fma_f64 v[14:15], v[18:19], v[6:7], -v[14:15]
	ds_read_b128 v[4:7], v156 offset:9072
	buffer_load_dword v23, off, s[36:39], 0 offset:168 ; 4-byte Folded Reload
	buffer_load_dword v24, off, s[36:39], 0 offset:172 ; 4-byte Folded Reload
	;; [unrolled: 1-line block ×4, first 2 shown]
	v_addc_co_u32_e32 v17, vcc, v17, v22, vcc
	global_store_dwordx4 v[16:17], v[0:3], off
	v_add_co_u32_e32 v16, vcc, s3, v16
	v_mul_f64 v[0:1], v[12:13], s[0:1]
	v_mul_f64 v[2:3], v[14:15], s[0:1]
	ds_read_b128 v[12:15], v156 offset:18144
	s_waitcnt vmcnt(1) lgkmcnt(2)
	v_mul_f64 v[18:19], v[25:26], v[10:11]
	v_mul_f64 v[20:21], v[25:26], v[8:9]
	v_mov_b32_e32 v26, s2
	v_addc_co_u32_e32 v17, vcc, v17, v26, vcc
	v_fma_f64 v[18:19], v[23:24], v[8:9], v[18:19]
	v_fma_f64 v[20:21], v[23:24], v[10:11], -v[20:21]
	ds_read_b128 v[8:11], v156 offset:19152
	buffer_load_dword v27, off, s[36:39], 0 offset:136 ; 4-byte Folded Reload
	buffer_load_dword v28, off, s[36:39], 0 offset:140 ; 4-byte Folded Reload
	;; [unrolled: 1-line block ×4, first 2 shown]
	s_waitcnt vmcnt(0) lgkmcnt(1)
	v_mul_f64 v[22:23], v[29:30], v[14:15]
	v_mul_f64 v[24:25], v[29:30], v[12:13]
	global_store_dwordx4 v[16:17], v[0:3], off
	v_add_co_u32_e32 v16, vcc, s4, v16
	v_mul_f64 v[0:1], v[18:19], s[0:1]
	v_mov_b32_e32 v18, s5
	v_mul_f64 v[2:3], v[20:21], s[0:1]
	v_fma_f64 v[12:13], v[27:28], v[12:13], v[22:23]
	v_fma_f64 v[14:15], v[27:28], v[14:15], -v[24:25]
	buffer_load_dword v26, off, s[36:39], 0 offset:8 ; 4-byte Folded Reload
	buffer_load_dword v27, off, s[36:39], 0 offset:12 ; 4-byte Folded Reload
	;; [unrolled: 1-line block ×4, first 2 shown]
	v_addc_co_u32_e32 v17, vcc, v17, v18, vcc
	s_waitcnt vmcnt(0)
	v_mul_f64 v[18:19], v[28:29], v[6:7]
	v_mul_f64 v[20:21], v[28:29], v[4:5]
	buffer_load_dword v28, off, s[36:39], 0 offset:152 ; 4-byte Folded Reload
	buffer_load_dword v29, off, s[36:39], 0 offset:156 ; 4-byte Folded Reload
	;; [unrolled: 1-line block ×4, first 2 shown]
	v_fma_f64 v[4:5], v[26:27], v[4:5], v[18:19]
	global_store_dwordx4 v[16:17], v[0:3], off
	v_fma_f64 v[6:7], v[26:27], v[6:7], -v[20:21]
	v_mul_f64 v[0:1], v[12:13], s[0:1]
	v_mul_f64 v[2:3], v[14:15], s[0:1]
	v_mov_b32_e32 v13, s2
	v_add_co_u32_e32 v12, vcc, s3, v16
	v_addc_co_u32_e32 v13, vcc, v17, v13, vcc
	v_mov_b32_e32 v14, s5
	global_store_dwordx4 v[12:13], v[0:3], off
	s_nop 0
	v_mul_f64 v[0:1], v[4:5], s[0:1]
	v_mul_f64 v[2:3], v[6:7], s[0:1]
	s_waitcnt vmcnt(2) lgkmcnt(0)
	v_mul_f64 v[22:23], v[30:31], v[10:11]
	v_mul_f64 v[24:25], v[30:31], v[8:9]
	v_fma_f64 v[8:9], v[28:29], v[8:9], v[22:23]
	v_fma_f64 v[10:11], v[28:29], v[10:11], -v[24:25]
	v_mul_f64 v[4:5], v[8:9], s[0:1]
	v_mul_f64 v[6:7], v[10:11], s[0:1]
	v_add_co_u32_e32 v8, vcc, s4, v12
	v_addc_co_u32_e32 v9, vcc, v13, v14, vcc
	global_store_dwordx4 v[8:9], v[0:3], off
	s_nop 0
	v_mov_b32_e32 v1, s2
	v_add_co_u32_e32 v0, vcc, s3, v8
	v_addc_co_u32_e32 v1, vcc, v9, v1, vcc
	global_store_dwordx4 v[0:1], v[4:7], off
.LBB0_26:
	s_endpgm
	.section	.rodata,"a",@progbits
	.p2align	6, 0x0
	.amdhsa_kernel bluestein_single_back_len1260_dim1_dp_op_CI_CI
		.amdhsa_group_segment_fixed_size 20160
		.amdhsa_private_segment_fixed_size 1008
		.amdhsa_kernarg_size 104
		.amdhsa_user_sgpr_count 6
		.amdhsa_user_sgpr_private_segment_buffer 1
		.amdhsa_user_sgpr_dispatch_ptr 0
		.amdhsa_user_sgpr_queue_ptr 0
		.amdhsa_user_sgpr_kernarg_segment_ptr 1
		.amdhsa_user_sgpr_dispatch_id 0
		.amdhsa_user_sgpr_flat_scratch_init 0
		.amdhsa_user_sgpr_private_segment_size 0
		.amdhsa_uses_dynamic_stack 0
		.amdhsa_system_sgpr_private_segment_wavefront_offset 1
		.amdhsa_system_sgpr_workgroup_id_x 1
		.amdhsa_system_sgpr_workgroup_id_y 0
		.amdhsa_system_sgpr_workgroup_id_z 0
		.amdhsa_system_sgpr_workgroup_info 0
		.amdhsa_system_vgpr_workitem_id 0
		.amdhsa_next_free_vgpr 256
		.amdhsa_next_free_sgpr 40
		.amdhsa_reserve_vcc 1
		.amdhsa_reserve_flat_scratch 0
		.amdhsa_float_round_mode_32 0
		.amdhsa_float_round_mode_16_64 0
		.amdhsa_float_denorm_mode_32 3
		.amdhsa_float_denorm_mode_16_64 3
		.amdhsa_dx10_clamp 1
		.amdhsa_ieee_mode 1
		.amdhsa_fp16_overflow 0
		.amdhsa_exception_fp_ieee_invalid_op 0
		.amdhsa_exception_fp_denorm_src 0
		.amdhsa_exception_fp_ieee_div_zero 0
		.amdhsa_exception_fp_ieee_overflow 0
		.amdhsa_exception_fp_ieee_underflow 0
		.amdhsa_exception_fp_ieee_inexact 0
		.amdhsa_exception_int_div_zero 0
	.end_amdhsa_kernel
	.text
.Lfunc_end0:
	.size	bluestein_single_back_len1260_dim1_dp_op_CI_CI, .Lfunc_end0-bluestein_single_back_len1260_dim1_dp_op_CI_CI
                                        ; -- End function
	.section	.AMDGPU.csdata,"",@progbits
; Kernel info:
; codeLenInByte = 32732
; NumSgprs: 44
; NumVgprs: 256
; ScratchSize: 1008
; MemoryBound: 0
; FloatMode: 240
; IeeeMode: 1
; LDSByteSize: 20160 bytes/workgroup (compile time only)
; SGPRBlocks: 5
; VGPRBlocks: 63
; NumSGPRsForWavesPerEU: 44
; NumVGPRsForWavesPerEU: 256
; Occupancy: 1
; WaveLimiterHint : 1
; COMPUTE_PGM_RSRC2:SCRATCH_EN: 1
; COMPUTE_PGM_RSRC2:USER_SGPR: 6
; COMPUTE_PGM_RSRC2:TRAP_HANDLER: 0
; COMPUTE_PGM_RSRC2:TGID_X_EN: 1
; COMPUTE_PGM_RSRC2:TGID_Y_EN: 0
; COMPUTE_PGM_RSRC2:TGID_Z_EN: 0
; COMPUTE_PGM_RSRC2:TIDIG_COMP_CNT: 0
	.type	__hip_cuid_16d263592999a089,@object ; @__hip_cuid_16d263592999a089
	.section	.bss,"aw",@nobits
	.globl	__hip_cuid_16d263592999a089
__hip_cuid_16d263592999a089:
	.byte	0                               ; 0x0
	.size	__hip_cuid_16d263592999a089, 1

	.ident	"AMD clang version 19.0.0git (https://github.com/RadeonOpenCompute/llvm-project roc-6.4.0 25133 c7fe45cf4b819c5991fe208aaa96edf142730f1d)"
	.section	".note.GNU-stack","",@progbits
	.addrsig
	.addrsig_sym __hip_cuid_16d263592999a089
	.amdgpu_metadata
---
amdhsa.kernels:
  - .args:
      - .actual_access:  read_only
        .address_space:  global
        .offset:         0
        .size:           8
        .value_kind:     global_buffer
      - .actual_access:  read_only
        .address_space:  global
        .offset:         8
        .size:           8
        .value_kind:     global_buffer
      - .actual_access:  read_only
        .address_space:  global
        .offset:         16
        .size:           8
        .value_kind:     global_buffer
      - .actual_access:  read_only
        .address_space:  global
        .offset:         24
        .size:           8
        .value_kind:     global_buffer
      - .actual_access:  read_only
        .address_space:  global
        .offset:         32
        .size:           8
        .value_kind:     global_buffer
      - .offset:         40
        .size:           8
        .value_kind:     by_value
      - .address_space:  global
        .offset:         48
        .size:           8
        .value_kind:     global_buffer
      - .address_space:  global
        .offset:         56
        .size:           8
        .value_kind:     global_buffer
      - .address_space:  global
        .offset:         64
        .size:           8
        .value_kind:     global_buffer
      - .address_space:  global
        .offset:         72
        .size:           8
        .value_kind:     global_buffer
      - .offset:         80
        .size:           4
        .value_kind:     by_value
      - .address_space:  global
        .offset:         88
        .size:           8
        .value_kind:     global_buffer
      - .address_space:  global
        .offset:         96
        .size:           8
        .value_kind:     global_buffer
    .group_segment_fixed_size: 20160
    .kernarg_segment_align: 8
    .kernarg_segment_size: 104
    .language:       OpenCL C
    .language_version:
      - 2
      - 0
    .max_flat_workgroup_size: 63
    .name:           bluestein_single_back_len1260_dim1_dp_op_CI_CI
    .private_segment_fixed_size: 1008
    .sgpr_count:     44
    .sgpr_spill_count: 0
    .symbol:         bluestein_single_back_len1260_dim1_dp_op_CI_CI.kd
    .uniform_work_group_size: 1
    .uses_dynamic_stack: false
    .vgpr_count:     256
    .vgpr_spill_count: 251
    .wavefront_size: 64
amdhsa.target:   amdgcn-amd-amdhsa--gfx906
amdhsa.version:
  - 1
  - 2
...

	.end_amdgpu_metadata
